;; amdgpu-corpus repo=ROCm/rocFFT kind=compiled arch=gfx950 opt=O3
	.text
	.amdgcn_target "amdgcn-amd-amdhsa--gfx950"
	.amdhsa_code_object_version 6
	.protected	bluestein_single_back_len1540_dim1_sp_op_CI_CI ; -- Begin function bluestein_single_back_len1540_dim1_sp_op_CI_CI
	.globl	bluestein_single_back_len1540_dim1_sp_op_CI_CI
	.p2align	8
	.type	bluestein_single_back_len1540_dim1_sp_op_CI_CI,@function
bluestein_single_back_len1540_dim1_sp_op_CI_CI: ; @bluestein_single_back_len1540_dim1_sp_op_CI_CI
; %bb.0:
	s_load_dwordx4 s[12:15], s[0:1], 0x28
	v_mul_u32_u24_e32 v1, 0x1aa, v0
	v_mov_b32_e32 v59, 0
	v_add_u32_sdwa v60, s2, v1 dst_sel:DWORD dst_unused:UNUSED_PAD src0_sel:DWORD src1_sel:WORD_1
	v_mov_b32_e32 v61, v59
	s_waitcnt lgkmcnt(0)
	v_cmp_gt_u64_e32 vcc, s[12:13], v[60:61]
	s_and_saveexec_b64 s[2:3], vcc
	s_cbranch_execz .LBB0_25
; %bb.1:
	s_load_dwordx2 s[12:13], s[0:1], 0x0
	s_load_dwordx2 s[16:17], s[0:1], 0x38
	s_movk_i32 s2, 0x9a
	v_mul_lo_u16_sdwa v1, v1, s2 dst_sel:DWORD dst_unused:UNUSED_PAD src0_sel:WORD_1 src1_sel:DWORD
	v_sub_u16_e32 v58, v0, v1
	s_movk_i32 s2, 0x8c
	v_cmp_gt_u16_e64 s[6:7], s2, v58
	v_lshlrev_b32_e32 v56, 3, v58
	s_and_saveexec_b64 s[2:3], s[6:7]
	s_cbranch_execz .LBB0_3
; %bb.2:
	s_load_dwordx2 s[4:5], s[0:1], 0x18
	v_mov_b32_e32 v0, s14
	v_mov_b32_e32 v1, s15
	;; [unrolled: 1-line block ×4, first 2 shown]
	s_waitcnt lgkmcnt(0)
	s_load_dwordx4 s[8:11], s[4:5], 0x0
	s_waitcnt lgkmcnt(0)
	v_mad_u64_u32 v[2:3], s[4:5], s10, v60, 0
	v_mad_u64_u32 v[4:5], s[4:5], s8, v58, 0
	v_mov_b32_e32 v6, v3
	v_mov_b32_e32 v8, v5
	v_mad_u64_u32 v[6:7], s[4:5], s11, v60, v[6:7]
	v_mov_b32_e32 v3, v6
	v_mad_u64_u32 v[6:7], s[4:5], s9, v58, v[8:9]
	v_mov_b32_e32 v5, v6
	v_lshl_add_u64 v[0:1], v[2:3], 3, v[0:1]
	v_lshl_add_u64 v[0:1], v[4:5], 3, v[0:1]
	global_load_dwordx2 v[2:3], v[0:1], off
	v_mad_u64_u32 v[0:1], s[4:5], s8, v44, v[0:1]
	s_mulk_i32 s9, 0x460
	v_add_u32_e32 v1, s9, v1
	v_mad_u64_u32 v[8:9], s[4:5], s8, v44, v[0:1]
	v_add_u32_e32 v9, s9, v9
	v_mad_u64_u32 v[10:11], s[4:5], s8, v44, v[8:9]
	;; [unrolled: 2-line block ×3, first 2 shown]
	v_lshl_add_u64 v[4:5], s[12:13], 0, v[56:57]
	v_add_u32_e32 v19, s9, v19
	s_movk_i32 s4, 0x1000
	global_load_dwordx2 v[6:7], v56, s[12:13]
	global_load_dwordx2 v[12:13], v56, s[12:13] offset:1120
	global_load_dwordx2 v[14:15], v56, s[12:13] offset:2240
	;; [unrolled: 1-line block ×3, first 2 shown]
	global_load_dwordx2 v[20:21], v[0:1], off
	global_load_dwordx2 v[22:23], v[8:9], off
	global_load_dwordx2 v[24:25], v[10:11], off
	global_load_dwordx2 v[26:27], v[18:19], off
	v_add_co_u32_e32 v0, vcc, s4, v4
	v_mad_u64_u32 v[8:9], s[4:5], s8, v44, v[18:19]
	v_add_u32_e32 v9, s9, v9
	global_load_dwordx2 v[10:11], v[8:9], off
	v_mad_u64_u32 v[8:9], s[4:5], s8, v44, v[8:9]
	v_addc_co_u32_e32 v1, vcc, 0, v5, vcc
	v_add_u32_e32 v9, s9, v9
	global_load_dwordx2 v[18:19], v[0:1], off offset:384
	global_load_dwordx2 v[28:29], v[8:9], off
	global_load_dwordx2 v[30:31], v[0:1], off offset:1504
	v_mad_u64_u32 v[8:9], s[4:5], s8, v44, v[8:9]
	v_add_u32_e32 v9, s9, v9
	global_load_dwordx2 v[32:33], v[8:9], off
	global_load_dwordx2 v[34:35], v[0:1], off offset:2624
	global_load_dwordx2 v[36:37], v[0:1], off offset:3744
	v_mad_u64_u32 v[0:1], s[4:5], s8, v44, v[8:9]
	v_add_u32_e32 v1, s9, v1
	s_movk_i32 s4, 0x2000
	global_load_dwordx2 v[8:9], v[0:1], off
	v_add_co_u32_e32 v4, vcc, s4, v4
	v_mad_u64_u32 v[0:1], s[4:5], s8, v44, v[0:1]
	s_nop 0
	v_addc_co_u32_e32 v5, vcc, 0, v5, vcc
	v_add_u32_e32 v1, s9, v1
	global_load_dwordx2 v[38:39], v[4:5], off offset:768
	global_load_dwordx2 v[40:41], v[0:1], off
	global_load_dwordx2 v[42:43], v[4:5], off offset:1888
	v_mad_u64_u32 v[0:1], s[4:5], s8, v44, v[0:1]
	v_add_u32_e32 v1, s9, v1
	global_load_dwordx2 v[44:45], v[4:5], off offset:3008
	global_load_dwordx2 v[46:47], v[0:1], off
	v_add_u32_e32 v4, 0x800, v56
	s_waitcnt vmcnt(20)
	v_mul_f32_e32 v0, v3, v7
	v_mul_f32_e32 v1, v2, v7
	v_fmac_f32_e32 v0, v2, v6
	v_fma_f32 v1, v3, v6, -v1
	s_waitcnt vmcnt(16)
	v_mul_f32_e32 v2, v21, v13
	v_mul_f32_e32 v3, v20, v13
	v_fmac_f32_e32 v2, v20, v12
	v_fma_f32 v3, v21, v12, -v3
	ds_write2_b64 v56, v[0:1], v[2:3] offset1:140
	s_waitcnt vmcnt(15)
	v_mul_f32_e32 v0, v23, v15
	v_mul_f32_e32 v1, v22, v15
	s_waitcnt vmcnt(14)
	v_mul_f32_e32 v2, v25, v17
	v_mul_f32_e32 v3, v24, v17
	v_fmac_f32_e32 v0, v22, v14
	v_fma_f32 v1, v23, v14, -v1
	v_fmac_f32_e32 v2, v24, v16
	v_fma_f32 v3, v25, v16, -v3
	ds_write2_b64 v4, v[0:1], v[2:3] offset0:24 offset1:164
	s_waitcnt vmcnt(11)
	v_mul_f32_e32 v0, v27, v19
	v_mul_f32_e32 v1, v26, v19
	s_waitcnt vmcnt(9)
	v_mul_f32_e32 v2, v11, v31
	v_mul_f32_e32 v3, v10, v31
	v_fmac_f32_e32 v0, v26, v18
	v_fma_f32 v1, v27, v18, -v1
	v_fmac_f32_e32 v2, v10, v30
	v_fma_f32 v3, v11, v30, -v3
	v_add_u32_e32 v4, 0x1000, v56
	ds_write2_b64 v4, v[0:1], v[2:3] offset0:48 offset1:188
	s_waitcnt vmcnt(7)
	v_mul_f32_e32 v0, v29, v35
	v_mul_f32_e32 v1, v28, v35
	s_waitcnt vmcnt(6)
	v_mul_f32_e32 v2, v33, v37
	v_mul_f32_e32 v3, v32, v37
	v_fmac_f32_e32 v0, v28, v34
	v_fma_f32 v1, v29, v34, -v1
	v_fmac_f32_e32 v2, v32, v36
	v_fma_f32 v3, v33, v36, -v3
	v_add_u32_e32 v4, 0x1800, v56
	;; [unrolled: 12-line block ×3, first 2 shown]
	ds_write2_b64 v4, v[0:1], v[2:3] offset0:96 offset1:236
	s_waitcnt vmcnt(0)
	v_mul_f32_e32 v0, v47, v45
	v_mul_f32_e32 v1, v46, v45
	v_fmac_f32_e32 v0, v46, v44
	v_fma_f32 v1, v47, v44, -v1
	ds_write_b64 v56, v[0:1] offset:11200
.LBB0_3:
	s_or_b64 exec, exec, s[2:3]
	s_load_dwordx2 s[2:3], s[0:1], 0x20
	s_load_dwordx2 s[14:15], s[0:1], 0x8
	v_mov_b64_e32 v[0:1], 0
	s_waitcnt lgkmcnt(0)
	s_barrier
	s_waitcnt lgkmcnt(0)
                                        ; implicit-def: $vgpr8
                                        ; implicit-def: $vgpr6
                                        ; implicit-def: $vgpr20
                                        ; implicit-def: $vgpr14
                                        ; implicit-def: $vgpr42
	s_and_saveexec_b64 s[0:1], s[6:7]
	s_cbranch_execz .LBB0_5
; %bb.4:
	v_add_u32_e32 v4, 0x800, v56
	ds_read2_b64 v[12:15], v4 offset0:24 offset1:164
	v_add_u32_e32 v4, 0x1000, v56
	v_add_u32_e32 v8, 0x1800, v56
	;; [unrolled: 1-line block ×3, first 2 shown]
	ds_read2_b64 v[0:3], v56 offset1:140
	ds_read2_b64 v[4:7], v4 offset0:48 offset1:188
	ds_read2_b64 v[8:11], v8 offset0:72 offset1:212
	;; [unrolled: 1-line block ×3, first 2 shown]
	ds_read_b64 v[42:43], v56 offset:11200
.LBB0_5:
	s_or_b64 exec, exec, s[0:1]
	s_waitcnt lgkmcnt(0)
	v_pk_add_f32 v[36:37], v[2:3], v[42:43] neg_lo:[0,1] neg_hi:[0,1]
	s_mov_b32 s24, 0xbf0a6770
	v_pk_add_f32 v[32:33], v[42:43], v[2:3]
	v_pk_add_f32 v[34:35], v[12:13], v[22:23] neg_lo:[0,1] neg_hi:[0,1]
	s_mov_b32 s10, 0x3f575c64
	v_pk_mul_f32 v[18:19], v[36:37], s[24:25] op_sel_hi:[1,0]
	s_mov_b32 s30, 0xbf68dda4
	v_pk_add_f32 v[30:31], v[22:23], v[12:13]
	v_pk_fma_f32 v[44:45], v[32:33], s[10:11], v[18:19] op_sel:[0,0,1] op_sel_hi:[1,0,0]
	v_pk_fma_f32 v[46:47], v[32:33], s[10:11], v[18:19] op_sel:[0,0,1] op_sel_hi:[1,0,0] neg_lo:[0,0,1] neg_hi:[0,0,1]
	s_mov_b32 s4, 0x3ed4b147
	v_pk_mul_f32 v[38:39], v[34:35], s[30:31] op_sel_hi:[1,0]
	v_mov_b32_e32 v18, v44
	v_mov_b32_e32 v19, v47
	v_pk_fma_f32 v[48:49], v[30:31], s[4:5], v[38:39] op_sel:[0,0,1] op_sel_hi:[1,0,0]
	v_pk_fma_f32 v[50:51], v[30:31], s[4:5], v[38:39] op_sel:[0,0,1] op_sel_hi:[1,0,0] neg_lo:[0,0,1] neg_hi:[0,0,1]
	v_pk_add_f32 v[28:29], v[14:15], v[20:21] neg_lo:[0,1] neg_hi:[0,1]
	v_pk_add_f32 v[18:19], v[18:19], v[0:1]
	v_mov_b32_e32 v38, v48
	v_mov_b32_e32 v39, v51
	s_mov_b32 s18, 0xbf7d64f0
	v_pk_add_f32 v[26:27], v[20:21], v[14:15]
	v_pk_add_f32 v[18:19], v[38:39], v[18:19]
	s_mov_b32 s8, 0xbe11bafb
	v_pk_mul_f32 v[38:39], v[28:29], s[18:19] op_sel_hi:[1,0]
	v_pk_add_f32 v[24:25], v[4:5], v[10:11] neg_lo:[0,1] neg_hi:[0,1]
	v_pk_fma_f32 v[52:53], v[26:27], s[8:9], v[38:39] op_sel:[0,0,1] op_sel_hi:[1,0,0]
	v_pk_fma_f32 v[54:55], v[26:27], s[8:9], v[38:39] op_sel:[0,0,1] op_sel_hi:[1,0,0] neg_lo:[0,0,1] neg_hi:[0,0,1]
	v_mov_b32_e32 v38, v52
	v_mov_b32_e32 v39, v55
	s_mov_b32 s22, 0xbf4178ce
	v_pk_add_f32 v[16:17], v[10:11], v[4:5]
	v_pk_add_f32 v[18:19], v[38:39], v[18:19]
	s_mov_b32 s20, 0xbf27a4f4
	v_pk_mul_f32 v[38:39], v[24:25], s[22:23] op_sel_hi:[1,0]
	s_mov_b32 s28, 0xbe903f40
	v_pk_fma_f32 v[62:63], v[16:17], s[20:21], v[38:39] op_sel:[0,0,1] op_sel_hi:[1,0,0]
	v_pk_fma_f32 v[64:65], v[16:17], s[20:21], v[38:39] op_sel:[0,0,1] op_sel_hi:[1,0,0] neg_lo:[0,0,1] neg_hi:[0,0,1]
	v_mov_b32_e32 v38, v62
	v_mov_b32_e32 v39, v65
	v_pk_add_f32 v[40:41], v[6:7], v[8:9] neg_lo:[0,1] neg_hi:[0,1]
	v_pk_add_f32 v[18:19], v[38:39], v[18:19]
	v_pk_add_f32 v[38:39], v[8:9], v[6:7]
	s_mov_b32 s26, 0xbf75a155
	v_pk_mul_f32 v[68:69], v[40:41], s[28:29] op_sel_hi:[1,0]
	v_mul_lo_u16_e32 v141, 11, v58
	v_pk_fma_f32 v[66:67], v[38:39], s[26:27], v[68:69] op_sel:[0,0,1] op_sel_hi:[1,0,0]
	v_pk_fma_f32 v[68:69], v[38:39], s[26:27], v[68:69] op_sel:[0,0,1] op_sel_hi:[1,0,0] neg_lo:[0,0,1] neg_hi:[0,0,1]
	v_mov_b32_e32 v70, v66
	v_mov_b32_e32 v71, v69
	v_pk_add_f32 v[18:19], v[70:71], v[18:19]
	s_barrier
	s_and_saveexec_b64 s[0:1], s[6:7]
	s_cbranch_execz .LBB0_7
; %bb.6:
	v_pk_add_f32 v[2:3], v[2:3], v[0:1]
	v_mov_b32_e32 v47, v45
	v_pk_add_f32 v[2:3], v[12:13], v[2:3]
	v_mov_b32_e32 v51, v49
	;; [unrolled: 2-line block ×3, first 2 shown]
	v_pk_add_f32 v[2:3], v[4:5], v[2:3]
	v_pk_add_f32 v[4:5], v[46:47], v[0:1]
	;; [unrolled: 1-line block ×7, first 2 shown]
	v_mov_b32_e32 v65, v63
	v_pk_add_f32 v[2:3], v[20:21], v[2:3]
	v_pk_add_f32 v[4:5], v[64:65], v[4:5]
	;; [unrolled: 1-line block ×3, first 2 shown]
	v_mov_b32_e32 v69, v67
	v_lshlrev_b32_e32 v57, 3, v141
	v_pk_add_f32 v[2:3], v[42:43], v[2:3]
	v_pk_add_f32 v[4:5], v[68:69], v[4:5]
	ds_write2_b64 v57, v[2:3], v[4:5] offset1:1
	v_pk_mul_f32 v[2:3], v[36:37], s[30:31] op_sel_hi:[1,0]
	v_pk_mul_f32 v[4:5], v[34:35], s[22:23] op_sel_hi:[1,0]
	v_pk_fma_f32 v[12:13], v[32:33], s[4:5], v[2:3] op_sel:[0,0,1] op_sel_hi:[1,0,0] neg_lo:[0,0,1] neg_hi:[0,0,1]
	v_pk_fma_f32 v[2:3], v[32:33], s[4:5], v[2:3] op_sel:[0,0,1] op_sel_hi:[1,0,0]
	s_mov_b32 s34, 0x3e903f40
	v_mov_b32_e32 v14, v12
	v_mov_b32_e32 v15, v3
	v_pk_fma_f32 v[20:21], v[30:31], s[20:21], v[4:5] op_sel:[0,0,1] op_sel_hi:[1,0,0] neg_lo:[0,0,1] neg_hi:[0,0,1]
	v_pk_fma_f32 v[4:5], v[30:31], s[20:21], v[4:5] op_sel:[0,0,1] op_sel_hi:[1,0,0]
	v_pk_mul_f32 v[6:7], v[28:29], s[34:35] op_sel_hi:[1,0]
	v_pk_add_f32 v[14:15], v[14:15], v[0:1]
	v_mov_b32_e32 v22, v20
	v_mov_b32_e32 v23, v5
	s_mov_b32 s36, 0x3f7d64f0
	v_pk_add_f32 v[14:15], v[22:23], v[14:15]
	v_pk_fma_f32 v[22:23], v[26:27], s[26:27], v[6:7] op_sel:[0,0,1] op_sel_hi:[1,0,0] neg_lo:[0,0,1] neg_hi:[0,0,1]
	v_pk_fma_f32 v[6:7], v[26:27], s[26:27], v[6:7] op_sel:[0,0,1] op_sel_hi:[1,0,0]
	v_pk_mul_f32 v[8:9], v[24:25], s[36:37] op_sel_hi:[1,0]
	v_mov_b32_e32 v42, v22
	v_mov_b32_e32 v43, v7
	s_mov_b32 s30, 0x3f0a6770
	v_pk_add_f32 v[14:15], v[42:43], v[14:15]
	v_pk_fma_f32 v[42:43], v[16:17], s[8:9], v[8:9] op_sel:[0,0,1] op_sel_hi:[1,0,0] neg_lo:[0,0,1] neg_hi:[0,0,1]
	v_pk_fma_f32 v[8:9], v[16:17], s[8:9], v[8:9] op_sel:[0,0,1] op_sel_hi:[1,0,0]
	v_pk_mul_f32 v[10:11], v[40:41], s[30:31] op_sel_hi:[1,0]
	v_mov_b32_e32 v44, v42
	v_mov_b32_e32 v45, v9
	v_pk_add_f32 v[14:15], v[44:45], v[14:15]
	v_pk_fma_f32 v[44:45], v[38:39], s[10:11], v[10:11] op_sel:[0,0,1] op_sel_hi:[1,0,0] neg_lo:[0,0,1] neg_hi:[0,0,1]
	v_pk_fma_f32 v[10:11], v[38:39], s[10:11], v[10:11] op_sel:[0,0,1] op_sel_hi:[1,0,0]
	v_mov_b32_e32 v46, v44
	v_mov_b32_e32 v47, v11
	v_pk_add_f32 v[14:15], v[46:47], v[14:15]
	v_pk_mul_f32 v[46:47], v[36:37], s[18:19] op_sel_hi:[1,0]
	v_pk_mul_f32 v[48:49], v[34:35], s[34:35] op_sel_hi:[1,0]
	v_pk_fma_f32 v[50:51], v[32:33], s[8:9], v[46:47] op_sel:[0,0,1] op_sel_hi:[1,0,0] neg_lo:[0,0,1] neg_hi:[0,0,1]
	v_pk_fma_f32 v[46:47], v[32:33], s[8:9], v[46:47] op_sel:[0,0,1] op_sel_hi:[1,0,0]
	v_mov_b32_e32 v52, v50
	v_mov_b32_e32 v53, v47
	v_pk_fma_f32 v[54:55], v[30:31], s[26:27], v[48:49] op_sel:[0,0,1] op_sel_hi:[1,0,0] neg_lo:[0,0,1] neg_hi:[0,0,1]
	v_pk_fma_f32 v[48:49], v[30:31], s[26:27], v[48:49] op_sel:[0,0,1] op_sel_hi:[1,0,0]
	v_pk_add_f32 v[52:53], v[52:53], v[0:1]
	v_mov_b32_e32 v62, v54
	v_mov_b32_e32 v63, v49
	s_mov_b32 s34, 0x3f68dda4
	v_pk_add_f32 v[52:53], v[62:63], v[52:53]
	v_pk_mul_f32 v[62:63], v[28:29], s[34:35] op_sel_hi:[1,0]
	v_pk_mul_f32 v[76:77], v[34:35], s[36:37] op_sel_hi:[1,0]
	v_pk_fma_f32 v[64:65], v[26:27], s[4:5], v[62:63] op_sel:[0,0,1] op_sel_hi:[1,0,0] neg_lo:[0,0,1] neg_hi:[0,0,1]
	v_pk_fma_f32 v[62:63], v[26:27], s[4:5], v[62:63] op_sel:[0,0,1] op_sel_hi:[1,0,0]
	v_mov_b32_e32 v66, v64
	v_mov_b32_e32 v67, v63
	v_pk_add_f32 v[52:53], v[66:67], v[52:53]
	v_pk_mul_f32 v[66:67], v[24:25], s[24:25] op_sel_hi:[1,0]
	v_pk_fma_f32 v[78:79], v[30:31], s[8:9], v[76:77] op_sel:[0,0,1] op_sel_hi:[1,0,0] neg_lo:[0,0,1] neg_hi:[0,0,1]
	v_pk_fma_f32 v[68:69], v[16:17], s[10:11], v[66:67] op_sel:[0,0,1] op_sel_hi:[1,0,0] neg_lo:[0,0,1] neg_hi:[0,0,1]
	v_pk_fma_f32 v[66:67], v[16:17], s[10:11], v[66:67] op_sel:[0,0,1] op_sel_hi:[1,0,0]
	v_mov_b32_e32 v70, v68
	v_mov_b32_e32 v71, v67
	v_pk_add_f32 v[52:53], v[70:71], v[52:53]
	v_pk_mul_f32 v[70:71], v[40:41], s[22:23] op_sel_hi:[1,0]
	v_pk_fma_f32 v[76:77], v[30:31], s[8:9], v[76:77] op_sel:[0,0,1] op_sel_hi:[1,0,0]
	v_pk_fma_f32 v[72:73], v[38:39], s[20:21], v[70:71] op_sel:[0,0,1] op_sel_hi:[1,0,0] neg_lo:[0,0,1] neg_hi:[0,0,1]
	v_pk_fma_f32 v[70:71], v[38:39], s[20:21], v[70:71] op_sel:[0,0,1] op_sel_hi:[1,0,0]
	v_mov_b32_e32 v74, v72
	v_mov_b32_e32 v75, v71
	v_pk_add_f32 v[52:53], v[74:75], v[52:53]
	ds_write2_b64 v57, v[14:15], v[52:53] offset0:2 offset1:3
	v_pk_mul_f32 v[14:15], v[36:37], s[22:23] op_sel_hi:[1,0]
	v_mov_b32_e32 v80, v78
	v_pk_fma_f32 v[52:53], v[32:33], s[20:21], v[14:15] op_sel:[0,0,1] op_sel_hi:[1,0,0] neg_lo:[0,0,1] neg_hi:[0,0,1]
	v_pk_fma_f32 v[14:15], v[32:33], s[20:21], v[14:15] op_sel:[0,0,1] op_sel_hi:[1,0,0]
	v_mov_b32_e32 v74, v52
	v_mov_b32_e32 v75, v15
	v_pk_add_f32 v[74:75], v[74:75], v[0:1]
	v_mov_b32_e32 v81, v77
	v_pk_add_f32 v[74:75], v[80:81], v[74:75]
	v_pk_mul_f32 v[80:81], v[28:29], s[24:25] op_sel_hi:[1,0]
	v_pk_mul_f32 v[36:37], v[36:37], s[28:29] op_sel_hi:[1,0]
	v_pk_fma_f32 v[82:83], v[26:27], s[10:11], v[80:81] op_sel:[0,0,1] op_sel_hi:[1,0,0] neg_lo:[0,0,1] neg_hi:[0,0,1]
	v_pk_fma_f32 v[80:81], v[26:27], s[10:11], v[80:81] op_sel:[0,0,1] op_sel_hi:[1,0,0]
	v_mov_b32_e32 v84, v82
	v_mov_b32_e32 v85, v81
	v_pk_add_f32 v[74:75], v[84:85], v[74:75]
	v_pk_mul_f32 v[84:85], v[24:25], s[28:29] op_sel_hi:[1,0]
	v_pk_mul_f32 v[34:35], v[34:35], s[30:31] op_sel_hi:[1,0]
	v_pk_fma_f32 v[86:87], v[16:17], s[26:27], v[84:85] op_sel:[0,0,1] op_sel_hi:[1,0,0] neg_lo:[0,0,1] neg_hi:[0,0,1]
	v_pk_fma_f32 v[84:85], v[16:17], s[26:27], v[84:85] op_sel:[0,0,1] op_sel_hi:[1,0,0]
	v_mov_b32_e32 v88, v86
	;; [unrolled: 7-line block ×3, first 2 shown]
	v_mov_b32_e32 v93, v89
	v_pk_add_f32 v[74:75], v[92:93], v[74:75]
	v_pk_fma_f32 v[92:93], v[32:33], s[26:27], v[36:37] op_sel:[0,0,1] op_sel_hi:[1,0,0] neg_lo:[0,0,1] neg_hi:[0,0,1]
	v_pk_fma_f32 v[32:33], v[32:33], s[26:27], v[36:37] op_sel:[0,0,1] op_sel_hi:[1,0,0]
	v_pk_fma_f32 v[36:37], v[30:31], s[10:11], v[34:35] op_sel:[0,0,1] op_sel_hi:[1,0,0] neg_lo:[0,0,1] neg_hi:[0,0,1]
	v_pk_fma_f32 v[30:31], v[30:31], s[10:11], v[34:35] op_sel:[0,0,1] op_sel_hi:[1,0,0]
	v_mov_b32_e32 v34, v92
	v_mov_b32_e32 v35, v33
	v_pk_add_f32 v[34:35], v[34:35], v[0:1]
	v_mov_b32_e32 v94, v36
	v_mov_b32_e32 v95, v31
	v_pk_add_f32 v[34:35], v[94:95], v[34:35]
	v_pk_fma_f32 v[94:95], v[26:27], s[20:21], v[28:29] op_sel:[0,0,1] op_sel_hi:[1,0,0] neg_lo:[0,0,1] neg_hi:[0,0,1]
	v_pk_fma_f32 v[26:27], v[26:27], s[20:21], v[28:29] op_sel:[0,0,1] op_sel_hi:[1,0,0]
	v_mov_b32_e32 v28, v94
	v_mov_b32_e32 v29, v27
	v_pk_mul_f32 v[24:25], v[24:25], s[34:35] op_sel_hi:[1,0]
	v_pk_add_f32 v[28:29], v[28:29], v[34:35]
	v_pk_fma_f32 v[34:35], v[16:17], s[4:5], v[24:25] op_sel:[0,0,1] op_sel_hi:[1,0,0] neg_lo:[0,0,1] neg_hi:[0,0,1]
	v_pk_fma_f32 v[16:17], v[16:17], s[4:5], v[24:25] op_sel:[0,0,1] op_sel_hi:[1,0,0]
	v_mov_b32_e32 v24, v34
	v_mov_b32_e32 v25, v17
	v_pk_add_f32 v[24:25], v[24:25], v[28:29]
	v_pk_mul_f32 v[28:29], v[40:41], s[18:19] op_sel_hi:[1,0]
	v_mov_b32_e32 v33, v93
	v_pk_fma_f32 v[40:41], v[38:39], s[8:9], v[28:29] op_sel:[0,0,1] op_sel_hi:[1,0,0] neg_lo:[0,0,1] neg_hi:[0,0,1]
	v_pk_fma_f32 v[28:29], v[38:39], s[8:9], v[28:29] op_sel:[0,0,1] op_sel_hi:[1,0,0]
	v_mov_b32_e32 v38, v40
	v_mov_b32_e32 v39, v29
	v_pk_add_f32 v[24:25], v[38:39], v[24:25]
	v_mov_b32_e32 v15, v53
	ds_write2_b64 v57, v[74:75], v[24:25] offset0:4 offset1:5
	v_mov_b32_e32 v31, v37
	v_pk_add_f32 v[24:25], v[32:33], v[0:1]
	v_mov_b32_e32 v77, v79
	v_pk_add_f32 v[14:15], v[14:15], v[0:1]
	v_pk_add_f32 v[24:25], v[30:31], v[24:25]
	v_mov_b32_e32 v27, v95
	v_pk_add_f32 v[14:15], v[76:77], v[14:15]
	v_mov_b32_e32 v81, v83
	;; [unrolled: 2-line block ×6, first 2 shown]
	v_pk_add_f32 v[16:17], v[28:29], v[16:17]
	v_pk_add_f32 v[14:15], v[88:89], v[14:15]
	v_mov_b32_e32 v47, v51
	v_mov_b32_e32 v3, v13
	ds_write2_b64 v57, v[16:17], v[14:15] offset0:6 offset1:7
	v_pk_add_f32 v[14:15], v[46:47], v[0:1]
	v_mov_b32_e32 v49, v55
	v_pk_add_f32 v[0:1], v[2:3], v[0:1]
	v_mov_b32_e32 v5, v21
	;; [unrolled: 2-line block ×8, first 2 shown]
	v_pk_add_f32 v[14:15], v[70:71], v[14:15]
	v_pk_add_f32 v[0:1], v[10:11], v[0:1]
	ds_write2_b64 v57, v[14:15], v[0:1] offset0:8 offset1:9
	ds_write_b64 v57, v[18:19] offset:80
.LBB0_7:
	s_or_b64 exec, exec, s[0:1]
	s_mov_b64 s[0:1], 0x134
	v_lshl_add_u64 v[2:3], v[58:59], 0, s[0:1]
	s_mov_b64 s[0:1], 0x1ce
	v_lshl_add_u64 v[4:5], v[58:59], 0, s[0:1]
	;; [unrolled: 2-line block ×3, first 2 shown]
	s_movk_i32 s0, 0x75
	v_mul_lo_u16_sdwa v0, v58, s0 dst_sel:DWORD dst_unused:UNUSED_PAD src0_sel:BYTE_0 src1_sel:DWORD
	v_sub_u16_sdwa v1, v58, v0 dst_sel:DWORD dst_unused:UNUSED_PAD src0_sel:DWORD src1_sel:BYTE_1
	v_lshrrev_b16_e32 v1, 1, v1
	s_mov_b32 s0, 0xba2f
	v_and_b32_e32 v1, 0x7f, v1
	v_mul_u32_u24_sdwa v5, v2, s0 dst_sel:DWORD dst_unused:UNUSED_PAD src0_sel:WORD_0 src1_sel:DWORD
	v_mul_u32_u24_sdwa v7, v6, s0 dst_sel:DWORD dst_unused:UNUSED_PAD src0_sel:WORD_0 src1_sel:DWORD
	v_add_u16_sdwa v0, v1, v0 dst_sel:DWORD dst_unused:UNUSED_PAD src0_sel:DWORD src1_sel:BYTE_1
	v_add_u16_e32 v55, 0x9a, v58
	v_lshrrev_b32_e32 v17, 19, v5
	v_lshrrev_b32_e32 v35, 19, v7
	v_lshrrev_b16_e32 v14, 3, v0
	v_mul_u32_u24_e32 v0, 0xba2f, v55
	v_mul_lo_u16_e32 v5, 11, v17
	v_mul_lo_u16_e32 v7, 11, v35
	v_mul_lo_u16_e32 v1, 11, v14
	v_lshrrev_b32_e32 v15, 19, v0
	v_sub_u16_e32 v20, v2, v5
	v_mul_u32_u24_sdwa v5, v4, s0 dst_sel:DWORD dst_unused:UNUSED_PAD src0_sel:WORD_0 src1_sel:DWORD
	v_sub_u16_e32 v36, v6, v7
	v_mul_lo_u16_e32 v3, 11, v15
	v_lshrrev_b32_e32 v34, 19, v5
	v_lshlrev_b32_e32 v6, 3, v36
	v_sub_u16_e32 v1, v58, v1
	s_load_dwordx4 s[8:11], s[2:3], 0x0
	s_waitcnt lgkmcnt(0)
	s_barrier
	v_sub_u16_e32 v16, v55, v3
	v_mul_lo_u16_e32 v5, 11, v34
	global_load_dwordx2 v[68:69], v6, s[14:15]
	v_and_b32_e32 v21, 0xff, v1
	v_lshlrev_b32_e32 v3, 3, v16
	v_sub_u16_e32 v37, v4, v5
	v_lshlrev_b32_e32 v1, 3, v21
	v_lshlrev_b32_e32 v2, 3, v20
	;; [unrolled: 1-line block ×3, first 2 shown]
	global_load_dwordx2 v[62:63], v3, s[14:15]
	global_load_dwordx2 v[66:67], v2, s[14:15]
	;; [unrolled: 1-line block ×4, first 2 shown]
	v_mov_b32_e32 v1, 3
	v_lshlrev_b32_sdwa v59, v1, v58 dst_sel:DWORD dst_unused:UNUSED_PAD src0_sel:DWORD src1_sel:WORD_0
	v_add_u32_e32 v6, 0x800, v59
	v_add_u32_e32 v10, 0x2400, v59
	;; [unrolled: 1-line block ×4, first 2 shown]
	ds_read2_b64 v[2:5], v59 offset1:154
	ds_read2_b64 v[6:9], v6 offset0:52 offset1:206
	ds_read2_b64 v[10:13], v10 offset0:80 offset1:234
	;; [unrolled: 1-line block ×4, first 2 shown]
	v_mad_legacy_u16 v15, v15, 22, v16
	v_lshlrev_b32_e32 v142, 3, v15
	v_mad_legacy_u16 v15, v17, 22, v20
	v_mul_u32_u24_e32 v14, 22, v14
	v_lshlrev_b32_e32 v143, 3, v15
	v_add_lshl_u32 v144, v14, v21, 3
	s_waitcnt lgkmcnt(0)
	s_barrier
	s_movk_i32 s0, 0x41
	v_cmp_lt_u16_e64 s[4:5], s0, v58
	s_movk_i32 s0, 0x42
	v_cmp_gt_u16_e64 s[2:3], s0, v58
                                        ; implicit-def: $vgpr46
                                        ; implicit-def: $vgpr54
                                        ; implicit-def: $vgpr52
                                        ; implicit-def: $vgpr72
                                        ; implicit-def: $vgpr74
	s_waitcnt vmcnt(4)
	v_pk_mul_f32 v[14:15], v[12:13], v[68:69] op_sel:[0,1]
	s_nop 0
	v_pk_fma_f32 v[16:17], v[12:13], v[68:69], v[14:15] op_sel:[0,0,1] op_sel_hi:[1,1,0] neg_lo:[0,0,1] neg_hi:[0,0,1]
	v_pk_fma_f32 v[12:13], v[12:13], v[68:69], v[14:15] op_sel:[0,0,1] op_sel_hi:[1,0,0]
	s_waitcnt vmcnt(3)
	v_pk_mul_f32 v[20:21], v[26:27], v[62:63] op_sel:[0,1]
	v_mov_b32_e32 v17, v13
	s_waitcnt vmcnt(1)
	v_pk_mul_f32 v[12:13], v[10:11], v[70:71] op_sel:[0,1]
	v_pk_mul_f32 v[14:15], v[28:29], v[66:67] op_sel:[0,1]
	s_waitcnt vmcnt(0)
	v_pk_mul_f32 v[30:31], v[24:25], v[64:65] op_sel:[0,1]
	v_pk_fma_f32 v[32:33], v[10:11], v[70:71], v[12:13] op_sel:[0,0,1] op_sel_hi:[1,1,0] neg_lo:[0,0,1] neg_hi:[0,0,1]
	v_pk_fma_f32 v[10:11], v[10:11], v[70:71], v[12:13] op_sel:[0,0,1] op_sel_hi:[1,0,0]
	v_pk_fma_f32 v[12:13], v[28:29], v[66:67], v[14:15] op_sel:[0,0,1] op_sel_hi:[1,1,0] neg_lo:[0,0,1] neg_hi:[0,0,1]
	v_pk_fma_f32 v[14:15], v[28:29], v[66:67], v[14:15] op_sel:[0,0,1] op_sel_hi:[1,0,0]
	;; [unrolled: 2-line block ×4, first 2 shown]
	v_mov_b32_e32 v13, v15
	v_mov_b32_e32 v27, v25
	;; [unrolled: 1-line block ×3, first 2 shown]
	v_pk_add_f32 v[14:15], v[2:3], v[26:27] neg_lo:[0,1] neg_hi:[0,1]
	v_mov_b32_e32 v33, v11
	v_pk_add_f32 v[10:11], v[6:7], v[12:13] neg_lo:[0,1] neg_hi:[0,1]
	v_pk_add_f32 v[12:13], v[4:5], v[28:29] neg_lo:[0,1] neg_hi:[0,1]
	v_pk_fma_f32 v[2:3], v[2:3], 2.0, v[14:15] op_sel_hi:[1,0,1] neg_lo:[0,0,1] neg_hi:[0,0,1]
	ds_write2_b64 v144, v[2:3], v[14:15] offset1:11
	v_pk_fma_f32 v[2:3], v[4:5], 2.0, v[12:13] op_sel_hi:[1,0,1] neg_lo:[0,0,1] neg_hi:[0,0,1]
	ds_write2_b64 v142, v[2:3], v[12:13] offset1:11
	v_pk_fma_f32 v[2:3], v[6:7], 2.0, v[10:11] op_sel_hi:[1,0,1] neg_lo:[0,0,1] neg_hi:[0,0,1]
	v_pk_add_f32 v[20:21], v[8:9], v[32:33] neg_lo:[0,1] neg_hi:[0,1]
	ds_write2_b64 v143, v[2:3], v[10:11] offset1:11
	v_mad_legacy_u16 v2, v34, 22, v37
	v_lshlrev_b32_e32 v145, 3, v2
	v_pk_fma_f32 v[2:3], v[8:9], 2.0, v[20:21] op_sel_hi:[1,0,1] neg_lo:[0,0,1] neg_hi:[0,0,1]
	v_pk_add_f32 v[16:17], v[22:23], v[16:17] neg_lo:[0,1] neg_hi:[0,1]
	ds_write2_b64 v145, v[2:3], v[20:21] offset1:11
	v_mad_legacy_u16 v2, v35, 22, v36
	v_pk_fma_f32 v[22:23], v[22:23], 2.0, v[16:17] op_sel_hi:[1,0,1] neg_lo:[0,0,1] neg_hi:[0,0,1]
	v_lshlrev_b32_e32 v146, 3, v2
	v_add_u32_e32 v2, 0xd00, v59
	ds_write2_b64 v146, v[22:23], v[16:17] offset1:11
	s_waitcnt lgkmcnt(0)
	s_barrier
	ds_read2_b64 v[36:39], v2 offset0:24 offset1:244
	v_add_u32_e32 v2, 0x1b00, v59
	ds_read2_b64 v[32:35], v59 offset1:220
	ds_read2_b64 v[40:43], v2 offset0:16 offset1:236
	ds_read_b64 v[50:51], v59 offset:10560
	s_and_saveexec_b64 s[0:1], s[2:3]
	s_cbranch_execz .LBB0_9
; %bb.8:
	v_add_u32_e32 v3, 0x2000, v59
	v_add_u32_e32 v2, 0x400, v59
	ds_read2_b64 v[44:47], v3 offset0:10 offset1:230
	ds_read_b64 v[52:53], v59 offset:11792
	ds_read2_b64 v[16:19], v1 offset0:18 offset1:238
	ds_read2_b64 v[20:23], v2 offset0:26 offset1:246
	s_waitcnt lgkmcnt(3)
	v_mov_b32_e32 v54, v47
	s_waitcnt lgkmcnt(2)
	v_mov_b32_e32 v72, v53
	v_mov_b32_e32 v74, v45
.LBB0_9:
	s_or_b64 exec, exec, s[0:1]
	v_lshrrev_b32_e32 v61, 20, v0
	v_mul_lo_u16_e32 v0, 22, v61
	v_sub_u16_e32 v140, v55, v0
	v_mul_lo_u16_e32 v48, 48, v140
	v_mov_b32_e32 v49, 0
	v_lshl_add_u64 v[12:13], s[14:15], 0, v[48:49]
	global_load_dwordx4 v[0:3], v[12:13], off offset:104
	global_load_dwordx4 v[4:7], v[12:13], off offset:120
	;; [unrolled: 1-line block ×3, first 2 shown]
	v_lshrrev_b16_e32 v12, 1, v58
	v_and_b32_e32 v12, 0x7f, v12
	v_mul_lo_u16_e32 v12, 0xbb, v12
	v_lshrrev_b16_e32 v57, 11, v12
	v_mul_lo_u16_e32 v12, 22, v57
	v_sub_u16_e32 v12, v58, v12
	v_and_b32_e32 v110, 0xff, v12
	v_mad_u64_u32 v[76:77], s[0:1], v110, 48, s[14:15]
	global_load_dwordx4 v[12:15], v[76:77], off offset:120
	global_load_dwordx4 v[24:27], v[76:77], off offset:88
	;; [unrolled: 1-line block ×3, first 2 shown]
	s_waitcnt lgkmcnt(1)
	v_mov_b32_e32 v48, v19
	v_mov_b32_e32 v76, v43
	;; [unrolled: 1-line block ×5, first 2 shown]
	s_mov_b32 s18, 0x3eae86e6
	s_mov_b32 s0, 0x3f5ff5aa
	;; [unrolled: 1-line block ×8, first 2 shown]
	s_waitcnt lgkmcnt(0)
	s_barrier
	s_waitcnt vmcnt(5)
	v_pk_mul_f32 v[80:81], v[48:49], v[0:1] op_sel_hi:[0,1]
	v_pk_mul_f32 v[74:75], v[74:75], v[2:3] op_sel_hi:[0,1]
	s_waitcnt vmcnt(4)
	v_pk_mul_f32 v[82:83], v[54:55], v[4:5] op_sel_hi:[0,1]
	v_pk_mul_f32 v[72:73], v[72:73], v[6:7] op_sel_hi:[0,1]
	s_waitcnt vmcnt(3)
	v_pk_mul_f32 v[84:85], v[16:17], v[10:11] op_sel:[1,0]
	v_pk_mul_f32 v[86:87], v[22:23], v[8:9] op_sel:[1,0]
	v_pk_fma_f32 v[88:89], v[44:45], v[2:3], v[74:75] op_sel:[0,0,1] op_sel_hi:[1,1,0] neg_lo:[0,0,1] neg_hi:[0,0,1]
	v_pk_fma_f32 v[44:45], v[44:45], v[2:3], v[74:75] op_sel:[0,0,1] op_sel_hi:[0,1,0]
	v_pk_fma_f32 v[74:75], v[46:47], v[4:5], v[82:83] op_sel:[0,0,1] op_sel_hi:[1,1,0] neg_lo:[0,0,1] neg_hi:[0,0,1]
	v_pk_fma_f32 v[46:47], v[46:47], v[4:5], v[82:83] op_sel:[0,0,1] op_sel_hi:[0,1,0]
	;; [unrolled: 2-line block ×6, first 2 shown]
	v_mov_b32_e32 v83, v19
	v_mov_b32_e32 v89, v45
	;; [unrolled: 1-line block ×6, first 2 shown]
	s_waitcnt vmcnt(2)
	v_pk_mul_f32 v[16:17], v[50:51], v[14:15] op_sel_hi:[1,0]
	v_mov_b32_e32 v18, v15
	s_waitcnt vmcnt(1)
	v_mul_f32_e32 v46, v37, v27
	s_waitcnt vmcnt(0)
	v_mul_f32_e32 v19, v39, v28
	v_mov_b32_e32 v37, v41
	v_mov_b32_e32 v22, v27
	;; [unrolled: 1-line block ×3, first 2 shown]
	v_mul_f32_e32 v48, v43, v13
	v_mov_b32_e32 v43, v39
	v_mov_b32_e32 v44, v13
	;; [unrolled: 1-line block ×3, first 2 shown]
	v_pk_add_f32 v[52:53], v[82:83], v[88:89]
	v_pk_add_f32 v[82:83], v[88:89], v[82:83] neg_lo:[0,1] neg_hi:[0,1]
	v_pk_add_f32 v[90:91], v[84:85], v[80:81]
	v_pk_add_f32 v[80:81], v[84:85], v[80:81] neg_lo:[0,1] neg_hi:[0,1]
	;; [unrolled: 2-line block ×3, first 2 shown]
	v_mul_f32_e32 v39, v38, v29
	v_mov_b32_e32 v86, v26
	v_mov_b32_e32 v87, v30
	;; [unrolled: 1-line block ×4, first 2 shown]
	v_pk_fma_f32 v[74:75], v[50:51], v[18:19], v[16:17] op_sel:[0,0,1] op_sel_hi:[1,0,0]
	v_pk_fma_f32 v[16:17], v[50:51], v[18:19], v[16:17] op_sel:[0,0,1] op_sel_hi:[1,0,0] neg_lo:[1,0,0] neg_hi:[1,0,0]
	v_fma_f32 v18, v36, v26, -v46
	v_pk_mul_f32 v[22:23], v[36:37], v[22:23]
	v_fma_f32 v38, v42, v12, -v48
	v_pk_mul_f32 v[36:37], v[42:43], v[44:45]
	v_pk_add_f32 v[42:43], v[72:73], v[80:81] op_sel:[1,1] op_sel_hi:[0,0] neg_lo:[0,1] neg_hi:[0,1]
	v_pk_add_f32 v[44:45], v[80:81], v[82:83] op_sel:[1,1] op_sel_hi:[0,0] neg_lo:[0,1] neg_hi:[0,1]
	v_pk_fma_f32 v[50:51], v[78:79], v[86:87], v[22:23] neg_lo:[0,0,1] neg_hi:[0,0,1]
	v_pk_fma_f32 v[22:23], v[78:79], v[26:27], v[22:23]
	v_pk_fma_f32 v[78:79], v[76:77], v[88:89], v[36:37] neg_lo:[0,0,1] neg_hi:[0,0,1]
	v_pk_fma_f32 v[36:37], v[76:77], v[12:13], v[36:37]
	v_pk_mul_f32 v[42:43], v[42:43], s[0:1] op_sel_hi:[1,0]
	v_pk_mul_f32 v[76:77], v[44:45], s[18:19] op_sel_hi:[1,0]
	v_pk_add_f32 v[86:87], v[82:83], v[72:73] op_sel:[1,1] op_sel_hi:[0,0] neg_lo:[0,1] neg_hi:[0,1]
	v_pk_fma_f32 v[44:45], v[44:45], s[18:19], v[42:43] op_sel_hi:[1,0,1] neg_lo:[1,0,1] neg_hi:[1,0,1]
	v_pk_fma_f32 v[42:43], v[86:87], s[20:21], v[42:43] op_sel_hi:[1,0,1] neg_lo:[1,0,0] neg_hi:[1,0,0]
	v_pk_fma_f32 v[76:77], v[86:87], s[20:21], v[76:77] op_sel_hi:[1,0,1]
	v_pk_mul_f32 v[86:87], v[34:35], v[24:25] op_sel_hi:[1,0]
	v_mul_f32_e32 v41, v41, v30
	v_pk_fma_f32 v[88:89], v[34:35], v[24:25], v[86:87] op_sel:[0,1,1] op_sel_hi:[1,1,0]
	v_pk_fma_f32 v[34:35], v[34:35], v[24:25], v[86:87] op_sel:[0,1,1] op_sel_hi:[1,1,0] neg_lo:[1,0,0] neg_hi:[1,0,0]
	v_mul_f32_e32 v47, v40, v31
	v_mov_b32_e32 v40, v35
	v_mov_b32_e32 v46, v17
	;; [unrolled: 1-line block ×6, first 2 shown]
	v_pk_add_f32 v[34:35], v[40:41], v[46:47]
	v_pk_add_f32 v[40:41], v[18:19], v[38:39]
	;; [unrolled: 1-line block ×3, first 2 shown]
	v_pk_add_f32 v[74:75], v[88:89], v[74:75] neg_lo:[0,1] neg_hi:[0,1]
	v_pk_add_f32 v[88:89], v[22:23], v[36:37]
	v_pk_add_f32 v[36:37], v[22:23], v[36:37] neg_lo:[0,1] neg_hi:[0,1]
	v_mov_b32_e32 v17, v18
	v_mov_b32_e32 v16, v35
	;; [unrolled: 1-line block ×4, first 2 shown]
	v_pk_add_f32 v[38:39], v[16:17], v[18:19] neg_lo:[0,1] neg_hi:[0,1]
	v_mov_b32_e32 v16, v79
	v_mov_b32_e32 v17, v88
	;; [unrolled: 1-line block ×6, first 2 shown]
	v_pk_add_f32 v[16:17], v[16:17], v[18:19]
	v_pk_add_f32 v[18:19], v[40:41], v[34:35]
	v_pk_add_f32 v[94:95], v[86:87], v[38:39] neg_lo:[0,1] neg_hi:[0,1]
	v_mov_b32_e32 v86, v38
	v_mov_b32_e32 v87, v75
	;; [unrolled: 1-line block ×4, first 2 shown]
	v_pk_add_f32 v[18:19], v[18:19], v[16:17]
	v_pk_add_f32 v[86:87], v[86:87], v[36:37] neg_lo:[0,1] neg_hi:[0,1]
	s_mov_b32 s21, s18
	v_pk_add_f32 v[22:23], v[32:33], v[18:19]
	v_pk_add_f32 v[32:33], v[90:91], v[52:53] neg_lo:[0,1] neg_hi:[0,1]
	v_pk_add_f32 v[46:47], v[84:85], v[90:91] neg_lo:[0,1] neg_hi:[0,1]
	v_pk_mul_f32 v[96:97], v[86:87], s[20:21]
	v_pk_add_f32 v[86:87], v[36:37], v[38:39]
	v_pk_mul_f32 v[32:33], v[32:33], s[26:27] op_sel_hi:[1,0]
	v_pk_mul_f32 v[50:51], v[46:47], s[28:29] op_sel_hi:[1,0]
	v_pk_add_f32 v[78:79], v[52:53], v[84:85] neg_lo:[0,1] neg_hi:[0,1]
	v_pk_add_f32 v[98:99], v[86:87], v[74:75]
	v_mov_b32_e32 v86, v16
	v_mov_b32_e32 v87, v92
	v_pk_fma_f32 v[50:51], v[78:79], s[30:31], v[50:51] op_sel_hi:[1,0,1] neg_lo:[1,0,0] neg_hi:[1,0,0]
	v_pk_fma_f32 v[78:79], v[78:79], s[30:31], v[32:33] op_sel_hi:[1,0,1]
	v_pk_add_f32 v[86:87], v[86:87], v[40:41] neg_lo:[0,1] neg_hi:[0,1]
	v_mov_b32_e32 v17, v88
	s_mov_b32 s31, s26
	s_mov_b32 s19, s20
	v_pk_add_f32 v[100:101], v[34:35], v[16:17] neg_lo:[0,1] neg_hi:[0,1]
	v_pk_mul_f32 v[102:103], v[86:87], s[30:31]
	s_mov_b32 s27, s30
	v_pk_fma_f32 v[104:105], v[18:19], s[24:25], v[22:23] op_sel_hi:[1,0,1] neg_lo:[1,0,0] neg_hi:[1,0,0]
	v_pk_fma_f32 v[16:17], v[100:101], s[26:27], v[102:103]
	v_pk_fma_f32 v[18:19], v[94:95], s[18:19], v[96:97]
	v_pk_add_f32 v[16:17], v[16:17], v[104:105]
	v_pk_fma_f32 v[18:19], v[98:99], s[22:23], v[18:19] op_sel_hi:[1,0,1]
	v_mov_b32_e32 v37, v39
	v_pk_add_f32 v[106:107], v[16:17], v[18:19]
	v_pk_add_f32 v[108:109], v[16:17], v[18:19] neg_lo:[0,1] neg_hi:[0,1]
	v_mul_u32_u24_e32 v16, 0x9a, v57
	v_add_lshl_u32 v147, v16, v110, 3
	v_mov_b32_e32 v16, v106
	v_mov_b32_e32 v17, v109
	ds_write2_b64 v147, v[22:23], v[16:17] offset1:22
	v_pk_add_f32 v[16:17], v[84:85], v[90:91]
	v_mov_b32_e32 v23, v53
	v_mov_b32_e32 v22, v16
	;; [unrolled: 1-line block ×3, first 2 shown]
	v_pk_add_f32 v[22:23], v[22:23], v[16:17]
	v_pk_add_f32 v[18:19], v[82:83], v[72:73] op_sel:[1,1] op_sel_hi:[0,0]
	v_pk_add_f32 v[16:17], v[20:21], v[22:23]
	v_pk_add_f32 v[18:19], v[18:19], v[80:81] op_sel:[0,1] op_sel_hi:[1,0]
	v_pk_fma_f32 v[20:21], v[46:47], s[28:29], v[32:33] op_sel_hi:[1,0,1] neg_lo:[1,0,1] neg_hi:[1,0,1]
	v_pk_fma_f32 v[22:23], v[22:23], s[24:25], v[16:17] op_sel_hi:[1,0,1] neg_lo:[1,0,0] neg_hi:[1,0,0]
	v_mov_b32_e32 v41, v88
	v_pk_add_f32 v[20:21], v[20:21], v[22:23]
	v_pk_add_f32 v[32:33], v[50:51], v[22:23]
	;; [unrolled: 1-line block ×3, first 2 shown]
	v_pk_fma_f32 v[22:23], v[18:19], s[22:23], v[42:43] op_sel_hi:[1,0,1]
	v_pk_fma_f32 v[50:51], v[18:19], s[22:23], v[76:77] op_sel_hi:[1,0,1]
	;; [unrolled: 1-line block ×3, first 2 shown]
	v_pk_add_f32 v[18:19], v[32:33], v[22:23] neg_lo:[0,1] neg_hi:[0,1]
	v_pk_add_f32 v[32:33], v[32:33], v[22:23]
	v_mov_b32_e32 v86, v18
	v_mov_b32_e32 v87, v33
	;; [unrolled: 1-line block ×3, first 2 shown]
	v_pk_add_f32 v[18:19], v[20:21], v[42:43] neg_lo:[0,1] neg_hi:[0,1]
	v_pk_add_f32 v[20:21], v[20:21], v[42:43]
	v_mov_b32_e32 v35, v92
	v_pk_mul_f32 v[38:39], v[94:95], s[18:19]
	v_pk_mul_f32 v[42:43], v[100:101], s[26:27]
	v_pk_add_f32 v[36:37], v[36:37], v[74:75] neg_lo:[0,1] neg_hi:[0,1]
	v_pk_add_f32 v[34:35], v[40:41], v[34:35] neg_lo:[0,1] neg_hi:[0,1]
	v_mov_b32_e32 v40, v42
	v_mov_b32_e32 v41, v103
	;; [unrolled: 1-line block ×6, first 2 shown]
	v_pk_fma_f32 v[40:41], v[34:35], s[28:29], v[40:41] op_sel_hi:[1,0,1] neg_lo:[1,0,1] neg_hi:[1,0,1]
	v_pk_fma_f32 v[44:45], v[36:37], s[0:1], v[44:45] op_sel_hi:[1,0,1] neg_lo:[1,0,1] neg_hi:[1,0,1]
	;; [unrolled: 1-line block ×4, first 2 shown]
	v_pk_add_f32 v[40:41], v[40:41], v[104:105]
	v_pk_fma_f32 v[44:45], v[98:99], s[22:23], v[44:45] op_sel_hi:[1,0,1]
	v_pk_add_f32 v[38:39], v[42:43], v[104:105]
	v_pk_fma_f32 v[36:37], v[98:99], s[22:23], v[36:37] op_sel_hi:[1,0,1]
	v_pk_add_f32 v[22:23], v[46:47], v[50:51] neg_lo:[0,1] neg_hi:[0,1]
	v_pk_add_f32 v[84:85], v[46:47], v[50:51]
	v_pk_add_f32 v[46:47], v[40:41], v[44:45]
	v_pk_add_f32 v[40:41], v[40:41], v[44:45] neg_lo:[0,1] neg_hi:[0,1]
	v_pk_add_f32 v[44:45], v[38:39], v[36:37] neg_lo:[0,1] neg_hi:[0,1]
	v_pk_add_f32 v[36:37], v[38:39], v[36:37]
	v_mov_b32_e32 v34, v18
	v_mov_b32_e32 v35, v21
	;; [unrolled: 1-line block ×11, first 2 shown]
	ds_write2_b64 v147, v[42:43], v[38:39] offset0:44 offset1:66
	ds_write2_b64 v147, v[36:37], v[40:41] offset0:88 offset1:110
	ds_write_b64 v147, v[108:109] offset:1056
	s_and_saveexec_b64 s[0:1], s[2:3]
	s_cbranch_execz .LBB0_11
; %bb.10:
	v_mul_u32_u24_e32 v18, 0xba2f, v55
	v_lshrrev_b32_e32 v18, 20, v18
	s_movk_i32 s18, 0x9a
	v_mad_legacy_u16 v18, v18, s18, v140
	v_lshlrev_b32_e32 v18, 3, v18
	v_mov_b32_e32 v22, v84
	v_mov_b32_e32 v21, v19
	ds_write2_b64 v18, v[16:17], v[22:23] offset1:22
	ds_write2_b64 v18, v[20:21], v[86:87] offset0:44 offset1:66
	ds_write2_b64 v18, v[32:33], v[34:35] offset0:88 offset1:110
	ds_write_b64 v18, v[80:81] offset:1056
.LBB0_11:
	s_or_b64 exec, exec, s[0:1]
	v_lshlrev_b32_e32 v48, 5, v58
	s_waitcnt lgkmcnt(0)
	s_barrier
	global_load_dwordx4 v[20:23], v48, s[14:15] offset:1144
	global_load_dwordx4 v[16:19], v48, s[14:15] offset:1160
	v_add_u32_e32 v57, 0x800, v59
	ds_read2_b64 v[36:39], v59 offset1:154
	v_add_u32_e32 v81, 0x1200, v59
	v_add_u32_e32 v84, 0x1c00, v59
	;; [unrolled: 1-line block ×3, first 2 shown]
	v_lshl_add_u64 v[72:73], s[14:15], 0, v[48:49]
	ds_read2_b64 v[40:43], v57 offset0:52 offset1:206
	ds_read2_b64 v[44:47], v81 offset0:40 offset1:194
	;; [unrolled: 1-line block ×4, first 2 shown]
	s_mov_b32 s0, 0x3f737871
	s_mov_b32 s20, 0x3f167918
	s_mov_b32 s18, 0x3e9e377a
	s_waitcnt lgkmcnt(0)
	s_barrier
	s_waitcnt vmcnt(1)
	v_pk_mul_f32 v[74:75], v[42:43], v[20:21] op_sel:[0,1]
	v_mov_b32_e32 v76, v23
	s_waitcnt vmcnt(0)
	v_pk_mul_f32 v[78:79], v[50:51], v[16:17] op_sel:[0,1]
	v_mov_b32_e32 v82, v19
	v_pk_mul_f32 v[88:89], v[40:41], v[20:21] op_sel:[0,1]
	v_pk_mul_f32 v[90:91], v[48:49], v[16:17] op_sel:[0,1]
	v_pk_fma_f32 v[92:93], v[42:43], v[20:21], v[74:75] op_sel:[0,0,1] op_sel_hi:[1,1,0] neg_lo:[0,0,1] neg_hi:[0,0,1]
	v_pk_fma_f32 v[42:43], v[42:43], v[20:21], v[74:75] op_sel:[0,0,1] op_sel_hi:[1,0,0]
	v_pk_mul_f32 v[74:75], v[46:47], v[76:77] op_sel_hi:[1,0]
	v_pk_fma_f32 v[94:95], v[50:51], v[16:17], v[78:79] op_sel:[0,0,1] op_sel_hi:[1,1,0] neg_lo:[0,0,1] neg_hi:[0,0,1]
	v_pk_fma_f32 v[50:51], v[50:51], v[16:17], v[78:79] op_sel:[0,0,1] op_sel_hi:[1,0,0]
	v_pk_mul_f32 v[78:79], v[54:55], v[82:83] op_sel_hi:[1,0]
	;; [unrolled: 3-line block ×4, first 2 shown]
	v_mov_b32_e32 v93, v43
	v_pk_fma_f32 v[42:43], v[46:47], v[22:23], v[74:75] op_sel:[0,0,1] op_sel_hi:[1,1,0] neg_lo:[0,0,1] neg_hi:[0,0,1]
	v_pk_fma_f32 v[46:47], v[46:47], v[22:23], v[74:75] op_sel:[0,0,1] op_sel_hi:[1,0,0]
	v_mov_b32_e32 v95, v51
	v_pk_fma_f32 v[50:51], v[54:55], v[18:19], v[78:79] op_sel:[0,0,1] op_sel_hi:[1,1,0] neg_lo:[0,0,1] neg_hi:[0,0,1]
	v_pk_fma_f32 v[54:55], v[54:55], v[18:19], v[78:79] op_sel:[0,0,1] op_sel_hi:[1,0,0]
	;; [unrolled: 3-line block ×4, first 2 shown]
	v_mov_b32_e32 v43, v47
	v_mov_b32_e32 v51, v55
	v_mov_b32_e32 v41, v45
	v_mov_b32_e32 v49, v53
	v_pk_add_f32 v[46:47], v[42:43], v[94:95]
	v_pk_add_f32 v[74:75], v[92:93], v[42:43] neg_lo:[0,1] neg_hi:[0,1]
	v_pk_add_f32 v[76:77], v[50:51], v[94:95] neg_lo:[0,1] neg_hi:[0,1]
	v_pk_add_f32 v[78:79], v[40:41], v[88:89]
	v_pk_add_f32 v[82:83], v[96:97], v[48:49] neg_lo:[0,1] neg_hi:[0,1]
	v_pk_add_f32 v[52:53], v[92:93], v[50:51] neg_lo:[0,1] neg_hi:[0,1]
	;; [unrolled: 1-line block ×5, first 2 shown]
	v_pk_fma_f32 v[46:47], v[46:47], 0.5, v[38:39] op_sel_hi:[1,0,1] neg_lo:[1,0,0] neg_hi:[1,0,0]
	v_pk_add_f32 v[74:75], v[74:75], v[76:77]
	v_pk_fma_f32 v[76:77], v[78:79], 0.5, v[36:37] op_sel_hi:[1,0,1] neg_lo:[1,0,0] neg_hi:[1,0,0]
	v_pk_mul_f32 v[78:79], v[82:83], s[0:1] op_sel_hi:[1,0]
	v_pk_add_f32 v[44:45], v[36:37], v[96:97]
	v_pk_add_f32 v[54:55], v[42:43], v[94:95] neg_lo:[0,1] neg_hi:[0,1]
	v_pk_mul_f32 v[104:105], v[90:91], s[20:21] op_sel_hi:[1,0]
	v_pk_add_f32 v[98:99], v[98:99], v[100:101]
	v_pk_fma_f32 v[100:101], v[52:53], s[0:1], v[46:47] op_sel:[1,0,0] op_sel_hi:[0,0,1] neg_lo:[1,0,0] neg_hi:[1,0,0]
	v_pk_add_f32 v[106:107], v[76:77], v[78:79] op_sel:[0,1] op_sel_hi:[1,0]
	v_pk_add_f32 v[76:77], v[76:77], v[78:79] op_sel:[0,1] op_sel_hi:[1,0] neg_lo:[0,1] neg_hi:[0,1]
	v_pk_add_f32 v[44:45], v[44:45], v[40:41]
	v_pk_fma_f32 v[78:79], v[54:55], s[20:21], v[100:101] op_sel:[1,0,0] op_sel_hi:[0,0,1] neg_lo:[1,0,0] neg_hi:[1,0,0]
	v_pk_add_f32 v[76:77], v[76:77], v[104:105] op_sel:[0,1] op_sel_hi:[1,0] neg_lo:[0,1] neg_hi:[0,1]
	v_pk_add_f32 v[100:101], v[106:107], v[104:105] op_sel:[0,1] op_sel_hi:[1,0]
	v_pk_add_f32 v[44:45], v[44:45], v[88:89]
	v_mov_b32_e32 v106, v100
	v_mov_b32_e32 v107, v77
	v_pk_add_f32 v[44:45], v[44:45], v[48:49]
	v_pk_fma_f32 v[106:107], v[98:99], s[18:19], v[106:107] op_sel_hi:[1,0,1]
	v_pk_add_f32 v[102:103], v[96:97], v[48:49]
	ds_write2_b64 v59, v[44:45], v[106:107] offset1:154
	v_pk_add_f32 v[40:41], v[40:41], v[96:97] neg_lo:[0,1] neg_hi:[0,1]
	v_pk_add_f32 v[44:45], v[88:89], v[48:49] neg_lo:[0,1] neg_hi:[0,1]
	v_pk_fma_f32 v[36:37], v[102:103], 0.5, v[36:37] op_sel_hi:[1,0,1] neg_lo:[1,0,0] neg_hi:[1,0,0]
	v_pk_add_f32 v[40:41], v[40:41], v[44:45]
	v_pk_mul_f32 v[44:45], v[90:91], s[0:1] op_sel_hi:[1,0]
	v_pk_mul_f32 v[48:49], v[82:83], s[20:21] op_sel_hi:[1,0]
	v_pk_add_f32 v[82:83], v[36:37], v[44:45] op_sel:[0,1] op_sel_hi:[1,0] neg_lo:[0,1] neg_hi:[0,1]
	v_pk_add_f32 v[36:37], v[36:37], v[44:45] op_sel:[0,1] op_sel_hi:[1,0]
	v_pk_add_f32 v[44:45], v[82:83], v[48:49] op_sel:[0,1] op_sel_hi:[1,0]
	v_pk_add_f32 v[36:37], v[36:37], v[48:49] op_sel:[0,1] op_sel_hi:[1,0] neg_lo:[0,1] neg_hi:[0,1]
	v_mov_b32_e32 v48, v44
	v_mov_b32_e32 v49, v37
	;; [unrolled: 1-line block ×3, first 2 shown]
	v_pk_fma_f32 v[48:49], v[40:41], s[18:19], v[48:49] op_sel_hi:[1,0,1]
	v_pk_fma_f32 v[36:37], v[40:41], s[18:19], v[36:37] op_sel_hi:[1,0,1]
	v_pk_add_f32 v[40:41], v[38:39], v[92:93]
	v_mov_b32_e32 v77, v101
	v_pk_add_f32 v[40:41], v[40:41], v[42:43]
	ds_write2_b64 v57, v[48:49], v[36:37] offset0:52 offset1:206
	v_pk_add_f32 v[40:41], v[40:41], v[94:95]
	v_pk_fma_f32 v[36:37], v[98:99], s[18:19], v[76:77] op_sel_hi:[1,0,1]
	v_pk_add_f32 v[40:41], v[40:41], v[50:51]
	ds_write2_b64 v81, v[36:37], v[40:41] offset0:40 offset1:194
	v_pk_add_f32 v[40:41], v[92:93], v[50:51]
	v_pk_fma_f32 v[46:47], v[52:53], s[0:1], v[46:47] op_sel:[1,0,0] op_sel_hi:[0,0,1]
	v_pk_fma_f32 v[38:39], v[40:41], 0.5, v[38:39] op_sel_hi:[1,0,1] neg_lo:[1,0,0] neg_hi:[1,0,0]
	v_pk_add_f32 v[40:41], v[42:43], v[92:93] neg_lo:[0,1] neg_hi:[0,1]
	v_pk_add_f32 v[42:43], v[94:95], v[50:51] neg_lo:[0,1] neg_hi:[0,1]
	v_pk_fma_f32 v[46:47], v[54:55], s[20:21], v[46:47] op_sel:[1,0,0] op_sel_hi:[0,0,1]
	v_pk_add_f32 v[40:41], v[40:41], v[42:43]
	v_pk_fma_f32 v[42:43], v[54:55], s[0:1], v[38:39] op_sel:[1,0,0] op_sel_hi:[0,0,1]
	v_pk_fma_f32 v[38:39], v[54:55], s[0:1], v[38:39] op_sel:[1,0,0] op_sel_hi:[0,0,1] neg_lo:[1,0,0] neg_hi:[1,0,0]
	v_pk_fma_f32 v[38:39], v[52:53], s[20:21], v[38:39] op_sel:[1,0,0] op_sel_hi:[0,0,1]
	v_pk_fma_f32 v[42:43], v[52:53], s[20:21], v[42:43] op_sel:[1,0,0] op_sel_hi:[0,0,1] neg_lo:[1,0,0] neg_hi:[1,0,0]
	v_mov_b32_e32 v105, v47
	v_mov_b32_e32 v47, v79
	;; [unrolled: 1-line block ×5, first 2 shown]
	v_pk_fma_f32 v[36:37], v[74:75], s[18:19], v[46:47] op_sel_hi:[1,0,1]
	v_mov_b32_e32 v44, v42
	v_pk_fma_f32 v[38:39], v[40:41], s[18:19], v[38:39] op_sel_hi:[1,0,1]
	v_pk_fma_f32 v[104:105], v[74:75], s[18:19], v[104:105] op_sel_hi:[1,0,1]
	v_pk_fma_f32 v[44:45], v[40:41], s[18:19], v[44:45] op_sel_hi:[1,0,1]
	ds_write2_b64 v84, v[36:37], v[38:39] offset0:28 offset1:182
	ds_write2_b64 v108, v[44:45], v[104:105] offset0:80 offset1:234
	v_mul_hi_i32_i24_e32 v37, 0xffffffe8, v58
	v_mul_i32_i24_e32 v36, 0xffffffe8, v58
	v_lshl_add_u64 v[36:37], v[72:73], 0, v[36:37]
	s_movk_i32 s0, 0x1000
	v_add_co_u32_e32 v38, vcc, s0, v36
	s_movk_i32 s0, 0x2000
	s_nop 0
	v_addc_co_u32_e32 v39, vcc, 0, v37, vcc
	s_waitcnt lgkmcnt(0)
	s_barrier
	global_load_dwordx2 v[82:83], v[38:39], off offset:1976
	global_load_dwordx2 v[76:77], v[38:39], off offset:3208
	v_add_co_u32_e32 v36, vcc, s0, v36
	s_waitcnt vmcnt(0)
	v_mov_b32_e32 v40, v77
	v_addc_co_u32_e32 v37, vcc, 0, v37, vcc
	global_load_dwordx2 v[78:79], v[36:37], off offset:344
	global_load_dwordx2 v[74:75], v[36:37], off offset:1576
	global_load_dwordx2 v[72:73], v[36:37], off offset:2808
	ds_read2_b64 v[36:39], v84 offset0:28 offset1:182
	ds_read2_b64 v[42:45], v59 offset1:154
	ds_read2_b64 v[52:55], v81 offset0:40 offset1:194
	ds_read2_b64 v[88:91], v57 offset0:52 offset1:206
	;; [unrolled: 1-line block ×3, first 2 shown]
	s_waitcnt lgkmcnt(4)
	v_pk_mul_f32 v[50:51], v[36:37], v[76:77] op_sel:[1,0] op_sel_hi:[0,1]
	v_pk_mul_f32 v[40:41], v[36:37], v[40:41] op_sel:[1,0] op_sel_hi:[0,1]
	s_waitcnt lgkmcnt(2)
	v_pk_mul_f32 v[92:93], v[54:55], v[82:83] op_sel:[0,1]
	v_mov_b32_e32 v51, v50
	v_pk_fma_f32 v[98:99], v[54:55], v[82:83], v[92:93] op_sel:[0,0,1] op_sel_hi:[1,1,0] neg_lo:[0,0,1] neg_hi:[0,0,1]
	v_pk_fma_f32 v[54:55], v[54:55], v[82:83], v[92:93] op_sel:[0,0,1] op_sel_hi:[1,0,0]
	v_pk_fma_f32 v[40:41], v[36:37], v[76:77], v[40:41] neg_lo:[0,0,1] neg_hi:[0,0,1]
	v_mov_b32_e32 v99, v55
	v_pk_fma_f32 v[50:51], v[36:37], v[76:77], v[50:51] op_sel:[1,0,0] op_sel_hi:[0,1,1]
	v_mov_b32_e32 v41, v51
	s_waitcnt vmcnt(2)
	v_pk_mul_f32 v[94:95], v[38:39], v[78:79] op_sel:[0,1]
	s_nop 0
	v_pk_fma_f32 v[92:93], v[38:39], v[78:79], v[94:95] op_sel:[0,0,1] op_sel_hi:[1,1,0] neg_lo:[0,0,1] neg_hi:[0,0,1]
	v_pk_fma_f32 v[38:39], v[38:39], v[78:79], v[94:95] op_sel:[0,0,1] op_sel_hi:[1,0,0]
	s_waitcnt vmcnt(1) lgkmcnt(0)
	v_pk_mul_f32 v[96:97], v[46:47], v[74:75] op_sel:[0,1]
	v_mov_b32_e32 v93, v39
	v_pk_add_f32 v[38:39], v[42:43], v[98:99] neg_lo:[0,1] neg_hi:[0,1]
	v_pk_fma_f32 v[54:55], v[46:47], v[74:75], v[96:97] op_sel:[0,0,1] op_sel_hi:[1,1,0] neg_lo:[0,0,1] neg_hi:[0,0,1]
	v_pk_fma_f32 v[36:37], v[42:43], 2.0, v[38:39] op_sel_hi:[1,0,1] neg_lo:[0,0,1] neg_hi:[0,0,1]
	v_pk_fma_f32 v[42:43], v[46:47], v[74:75], v[96:97] op_sel:[0,0,1] op_sel_hi:[1,0,0]
	v_pk_add_f32 v[46:47], v[88:89], v[92:93] neg_lo:[0,1] neg_hi:[0,1]
	v_mov_b32_e32 v55, v43
	s_waitcnt vmcnt(0)
	v_pk_mul_f32 v[42:43], v[48:49], v[72:73] op_sel:[0,1]
	v_pk_add_f32 v[50:51], v[90:91], v[54:55] neg_lo:[0,1] neg_hi:[0,1]
	v_pk_fma_f32 v[94:95], v[48:49], v[72:73], v[42:43] op_sel:[0,0,1] op_sel_hi:[1,1,0] neg_lo:[0,0,1] neg_hi:[0,0,1]
	v_pk_fma_f32 v[42:43], v[48:49], v[72:73], v[42:43] op_sel:[0,0,1] op_sel_hi:[1,0,0]
	v_pk_fma_f32 v[48:49], v[90:91], 2.0, v[50:51] op_sel_hi:[1,0,1] neg_lo:[0,0,1] neg_hi:[0,0,1]
	v_mov_b32_e32 v95, v43
	v_pk_add_f32 v[42:43], v[44:45], v[40:41] neg_lo:[0,1] neg_hi:[0,1]
	v_pk_add_f32 v[54:55], v[52:53], v[94:95] neg_lo:[0,1] neg_hi:[0,1]
	v_pk_fma_f32 v[40:41], v[44:45], 2.0, v[42:43] op_sel_hi:[1,0,1] neg_lo:[0,0,1] neg_hi:[0,0,1]
	v_pk_fma_f32 v[44:45], v[88:89], 2.0, v[46:47] op_sel_hi:[1,0,1] neg_lo:[0,0,1] neg_hi:[0,0,1]
	;; [unrolled: 1-line block ×3, first 2 shown]
	ds_write2_b64 v59, v[36:37], v[40:41] offset1:154
	ds_write2_b64 v84, v[42:43], v[46:47] offset0:28 offset1:182
	ds_write2_b64 v57, v[44:45], v[48:49] offset0:52 offset1:206
	;; [unrolled: 1-line block ×4, first 2 shown]
	s_waitcnt lgkmcnt(0)
	s_barrier
	s_and_saveexec_b64 s[0:1], s[6:7]
	s_cbranch_execz .LBB0_13
; %bb.12:
	v_mov_b32_e32 v57, 0
	v_lshl_add_u64 v[92:93], s[12:13], 0, v[56:57]
	v_add_co_u32_e32 v90, vcc, 0x3000, v92
	ds_read_b64 v[88:89], v59
	s_nop 0
	v_addc_co_u32_e32 v91, vcc, 0, v93, vcc
	global_load_dwordx2 v[90:91], v[90:91], off offset:32
	s_mov_b64 s[14:15], 0x3020
	v_lshl_add_u64 v[94:95], v[92:93], 0, s[14:15]
	s_movk_i32 s14, 0x4000
	s_waitcnt vmcnt(0) lgkmcnt(0)
	v_mul_f32_e32 v57, v89, v91
	v_mul_f32_e32 v97, v88, v91
	v_fma_f32 v96, v88, v90, -v57
	v_fmac_f32_e32 v97, v89, v90
	ds_write_b64 v59, v[96:97]
	global_load_dwordx2 v[96:97], v[94:95], off offset:1120
	v_add_u32_e32 v57, 0x400, v56
	ds_read2_b64 v[88:91], v57 offset0:12 offset1:152
	s_waitcnt vmcnt(0) lgkmcnt(0)
	v_mul_f32_e32 v81, v89, v97
	v_mul_f32_e32 v99, v88, v97
	v_fma_f32 v98, v88, v96, -v81
	v_fmac_f32_e32 v99, v89, v96
	global_load_dwordx2 v[88:89], v[94:95], off offset:2240
	s_waitcnt vmcnt(0)
	v_mul_f32_e32 v81, v91, v89
	global_load_dwordx2 v[94:95], v[94:95], off offset:3360
	v_mul_f32_e32 v97, v90, v89
	v_fma_f32 v96, v90, v88, -v81
	v_fmac_f32_e32 v97, v91, v88
	ds_write2_b64 v57, v[98:99], v[96:97] offset0:12 offset1:152
	v_add_u32_e32 v57, 0xc00, v56
	ds_read2_b64 v[88:91], v57 offset0:36 offset1:176
	s_waitcnt vmcnt(0) lgkmcnt(0)
	v_mul_f32_e32 v81, v89, v95
	v_mul_f32_e32 v97, v88, v95
	v_fma_f32 v96, v88, v94, -v81
	v_fmac_f32_e32 v97, v89, v94
	v_add_co_u32_e32 v94, vcc, s14, v92
	s_movk_i32 s14, 0x5000
	s_nop 0
	v_addc_co_u32_e32 v95, vcc, 0, v93, vcc
	global_load_dwordx2 v[88:89], v[94:95], off offset:416
	v_add_co_u32_e32 v92, vcc, s14, v92
	s_waitcnt vmcnt(0)
	v_mul_f32_e32 v81, v91, v89
	v_mul_f32_e32 v99, v90, v89
	v_fma_f32 v98, v90, v88, -v81
	v_fmac_f32_e32 v99, v91, v88
	ds_write2_b64 v57, v[96:97], v[98:99] offset0:36 offset1:176
	global_load_dwordx2 v[96:97], v[94:95], off offset:1536
	v_add_u32_e32 v57, 0x1400, v56
	ds_read2_b64 v[88:91], v57 offset0:60 offset1:200
	v_addc_co_u32_e32 v93, vcc, 0, v93, vcc
	s_waitcnt vmcnt(0) lgkmcnt(0)
	v_mul_f32_e32 v81, v89, v97
	v_mul_f32_e32 v99, v88, v97
	v_fma_f32 v98, v88, v96, -v81
	v_fmac_f32_e32 v99, v89, v96
	global_load_dwordx2 v[88:89], v[94:95], off offset:2656
	s_waitcnt vmcnt(0)
	v_mul_f32_e32 v81, v91, v89
	global_load_dwordx2 v[94:95], v[94:95], off offset:3776
	v_mul_f32_e32 v97, v90, v89
	v_fma_f32 v96, v90, v88, -v81
	v_fmac_f32_e32 v97, v91, v88
	ds_write2_b64 v57, v[98:99], v[96:97] offset0:60 offset1:200
	v_add_u32_e32 v57, 0x1c00, v56
	ds_read2_b64 v[88:91], v57 offset0:84 offset1:224
	s_waitcnt vmcnt(0) lgkmcnt(0)
	v_mul_f32_e32 v81, v89, v95
	v_mul_f32_e32 v97, v88, v95
	v_fma_f32 v96, v88, v94, -v81
	v_fmac_f32_e32 v97, v89, v94
	global_load_dwordx2 v[88:89], v[92:93], off offset:800
	s_waitcnt vmcnt(0)
	v_mul_f32_e32 v81, v91, v89
	v_mul_f32_e32 v95, v90, v89
	v_fma_f32 v94, v90, v88, -v81
	v_fmac_f32_e32 v95, v91, v88
	ds_write2_b64 v57, v[96:97], v[94:95] offset0:84 offset1:224
	global_load_dwordx2 v[94:95], v[92:93], off offset:1920
	v_add_u32_e32 v57, 0x2400, v56
	ds_read2_b64 v[88:91], v57 offset0:108 offset1:248
	s_waitcnt vmcnt(0) lgkmcnt(0)
	v_mul_f32_e32 v81, v89, v95
	v_mul_f32_e32 v97, v88, v95
	v_fma_f32 v96, v88, v94, -v81
	v_fmac_f32_e32 v97, v89, v94
	global_load_dwordx2 v[88:89], v[92:93], off offset:3040
	s_waitcnt vmcnt(0)
	v_mul_f32_e32 v81, v91, v89
	v_mul_f32_e32 v93, v90, v89
	v_fma_f32 v92, v90, v88, -v81
	v_fmac_f32_e32 v93, v91, v88
	ds_write2_b64 v57, v[96:97], v[92:93] offset0:108 offset1:248
.LBB0_13:
	s_or_b64 exec, exec, s[0:1]
	s_waitcnt lgkmcnt(0)
	s_barrier
	s_and_saveexec_b64 s[0:1], s[6:7]
	s_cbranch_execz .LBB0_15
; %bb.14:
	v_add_u32_e32 v40, 0x800, v59
	v_add_u32_e32 v44, 0x1000, v59
	;; [unrolled: 1-line block ×4, first 2 shown]
	ds_read2_b64 v[36:39], v59 offset1:140
	ds_read2_b64 v[40:43], v40 offset0:24 offset1:164
	ds_read2_b64 v[44:47], v44 offset0:48 offset1:188
	;; [unrolled: 1-line block ×4, first 2 shown]
	ds_read_b64 v[86:87], v59 offset:11200
.LBB0_15:
	s_or_b64 exec, exec, s[0:1]
	s_waitcnt lgkmcnt(0)
	v_pk_add_f32 v[98:99], v[38:39], v[86:87] neg_lo:[0,1] neg_hi:[0,1]
	v_pk_add_f32 v[110:111], v[38:39], v[86:87]
	v_mov_b32_e32 v101, v98
	v_mov_b32_e32 v100, v110
	;; [unrolled: 1-line block ×3, first 2 shown]
	v_pk_add_f32 v[98:99], v[40:41], v[54:55] neg_lo:[0,1] neg_hi:[0,1]
	v_pk_add_f32 v[112:113], v[40:41], v[54:55]
	v_mov_b32_e32 v103, v98
	v_mov_b32_e32 v102, v112
	;; [unrolled: 1-line block ×3, first 2 shown]
	v_pk_add_f32 v[98:99], v[42:43], v[52:53] neg_lo:[0,1] neg_hi:[0,1]
	v_pk_add_f32 v[114:115], v[42:43], v[52:53]
	s_mov_b32 s38, 0xbf0a6770
	v_mov_b32_e32 v104, v114
	v_mov_b32_e32 v105, v98
	v_mov_b32_e32 v114, v99
	v_pk_add_f32 v[98:99], v[44:45], v[50:51] neg_lo:[0,1] neg_hi:[0,1]
	v_pk_add_f32 v[116:117], v[44:45], v[50:51]
	s_mov_b32 s39, 0x3f575c64
	v_mov_b32_e32 v106, v116
	v_mov_b32_e32 v107, v98
	;; [unrolled: 1-line block ×3, first 2 shown]
	v_pk_add_f32 v[98:99], v[46:47], v[48:49] neg_lo:[0,1] neg_hi:[0,1]
	v_pk_add_f32 v[118:119], v[46:47], v[48:49]
	v_pk_mul_f32 v[120:121], v[110:111], s[38:39]
	s_mov_b32 s0, s39
	s_mov_b32 s1, s38
	;; [unrolled: 1-line block ×4, first 2 shown]
	v_mov_b32_e32 v108, v118
	v_mov_b32_e32 v109, v98
	;; [unrolled: 1-line block ×3, first 2 shown]
	v_pk_fma_f32 v[98:99], v[100:101], s[0:1], v[120:121] neg_lo:[0,0,1] neg_hi:[0,0,1]
	v_pk_fma_f32 v[122:123], v[100:101], s[0:1], v[120:121]
	v_pk_mul_f32 v[124:125], v[112:113], s[34:35]
	s_mov_b32 s14, s35
	s_mov_b32 s15, s34
	v_mov_b32_e32 v99, v123
	v_pk_fma_f32 v[128:129], v[102:103], s[14:15], v[124:125] neg_lo:[0,0,1] neg_hi:[0,0,1]
	v_pk_fma_f32 v[126:127], v[102:103], s[14:15], v[124:125]
	s_mov_b32 s36, 0xbf7d64f0
	v_pk_add_f32 v[98:99], v[36:37], v[98:99]
	v_mov_b32_e32 v129, v127
	s_mov_b32 s37, 0xbe11bafb
	v_pk_add_f32 v[98:99], v[128:129], v[98:99]
	v_pk_mul_f32 v[128:129], v[114:115], s[36:37]
	s_mov_b32 s22, s37
	s_mov_b32 s23, s36
	v_pk_fma_f32 v[132:133], v[104:105], s[22:23], v[128:129] neg_lo:[0,0,1] neg_hi:[0,0,1]
	v_pk_fma_f32 v[130:131], v[104:105], s[22:23], v[128:129]
	s_mov_b32 s40, 0xbf4178ce
	v_mov_b32_e32 v133, v131
	s_mov_b32 s41, 0xbf27a4f4
	v_pk_add_f32 v[98:99], v[132:133], v[98:99]
	v_pk_mul_f32 v[132:133], v[116:117], s[40:41]
	s_mov_b32 s20, s41
	s_mov_b32 s21, s40
	v_pk_fma_f32 v[136:137], v[106:107], s[20:21], v[132:133] neg_lo:[0,0,1] neg_hi:[0,0,1]
	v_pk_fma_f32 v[134:135], v[106:107], s[20:21], v[132:133]
	s_mov_b32 s42, 0xbe903f40
	v_mov_b32_e32 v137, v135
	s_mov_b32 s43, 0xbf75a155
	v_pk_add_f32 v[98:99], v[136:137], v[98:99]
	v_pk_mul_f32 v[136:137], v[118:119], s[42:43]
	s_mov_b32 s24, s43
	s_mov_b32 s25, s42
	v_pk_fma_f32 v[148:149], v[108:109], s[24:25], v[136:137] neg_lo:[0,0,1] neg_hi:[0,0,1]
	v_pk_fma_f32 v[138:139], v[108:109], s[24:25], v[136:137]
	v_mov_b32_e32 v96, v70
	v_mov_b32_e32 v149, v139
	v_mov_b32_e32 v97, v70
	v_mov_b32_e32 v70, v71
	v_mov_b32_e32 v94, v68
	v_mov_b32_e32 v95, v68
	v_mov_b32_e32 v68, v69
	v_mov_b32_e32 v92, v66
	v_mov_b32_e32 v93, v66
	v_mov_b32_e32 v66, v67
	v_mov_b32_e32 v90, v62
	v_mov_b32_e32 v91, v62
	v_mov_b32_e32 v62, v63
	v_mov_b32_e32 v88, v64
	v_mov_b32_e32 v89, v64
	v_mov_b32_e32 v64, v65
	v_pk_add_f32 v[98:99], v[148:149], v[98:99]
	s_barrier
	s_and_saveexec_b64 s[18:19], s[6:7]
	s_cbranch_execz .LBB0_17
; %bb.16:
	v_pk_add_f32 v[38:39], v[38:39], v[36:37]
	v_pk_mul_f32 v[148:149], v[100:101], s[0:1]
	v_pk_add_f32 v[38:39], v[40:41], v[38:39]
	v_pk_mul_f32 v[150:151], v[102:103], s[14:15]
	v_pk_add_f32 v[38:39], v[42:43], v[38:39]
	v_pk_add_f32 v[40:41], v[120:121], v[148:149] neg_lo:[0,1] neg_hi:[0,1]
	v_pk_add_f32 v[38:39], v[44:45], v[38:39]
	v_pk_mul_f32 v[152:153], v[104:105], s[22:23]
	v_pk_add_f32 v[38:39], v[46:47], v[38:39]
	v_mov_b32_e32 v123, v41
	v_pk_add_f32 v[42:43], v[124:125], v[150:151] neg_lo:[0,1] neg_hi:[0,1]
	v_pk_mul_f32 v[154:155], v[106:107], s[20:21]
	v_pk_add_f32 v[38:39], v[48:49], v[38:39]
	v_pk_add_f32 v[40:41], v[36:37], v[122:123]
	v_mov_b32_e32 v127, v43
	v_pk_add_f32 v[42:43], v[128:129], v[152:153] neg_lo:[0,1] neg_hi:[0,1]
	v_pk_mul_f32 v[156:157], v[108:109], s[24:25]
	v_pk_add_f32 v[38:39], v[50:51], v[38:39]
	v_pk_add_f32 v[40:41], v[126:127], v[40:41]
	v_mov_b32_e32 v131, v43
	v_pk_add_f32 v[42:43], v[132:133], v[154:155] neg_lo:[0,1] neg_hi:[0,1]
	v_pk_add_f32 v[38:39], v[52:53], v[38:39]
	v_pk_add_f32 v[40:41], v[130:131], v[40:41]
	v_mov_b32_e32 v135, v43
	v_pk_add_f32 v[42:43], v[136:137], v[156:157] neg_lo:[0,1] neg_hi:[0,1]
	v_pk_add_f32 v[38:39], v[54:55], v[38:39]
	v_pk_add_f32 v[40:41], v[134:135], v[40:41]
	v_mov_b32_e32 v139, v43
	v_lshlrev_b32_e32 v57, 3, v141
	v_pk_add_f32 v[38:39], v[86:87], v[38:39]
	v_pk_add_f32 v[40:41], v[138:139], v[40:41]
	ds_write2_b64 v57, v[38:39], v[40:41] offset1:1
	v_pk_mul_f32 v[38:39], v[110:111], s[34:35]
	v_pk_mul_f32 v[40:41], v[112:113], s[40:41]
	s_mov_b32 s27, 0x3e903f40
	v_pk_fma_f32 v[48:49], v[100:101], s[14:15], v[38:39]
	v_pk_fma_f32 v[50:51], v[100:101], s[14:15], v[38:39] neg_lo:[1,0,0] neg_hi:[1,0,0]
	s_mov_b32 s44, s27
	s_mov_b32 s45, s43
	v_mov_b32_e32 v50, v48
	v_pk_fma_f32 v[52:53], v[102:103], s[20:21], v[40:41]
	v_pk_fma_f32 v[54:55], v[102:103], s[20:21], v[40:41] neg_lo:[1,0,0] neg_hi:[1,0,0]
	s_mov_b32 s26, s43
	v_pk_mul_f32 v[42:43], v[114:115], s[44:45]
	s_mov_b32 s29, 0x3f7d64f0
	v_pk_add_f32 v[50:51], v[36:37], v[50:51]
	v_mov_b32_e32 v54, v52
	s_mov_b32 s48, s29
	s_mov_b32 s49, s37
	v_pk_add_f32 v[50:51], v[54:55], v[50:51]
	v_pk_fma_f32 v[54:55], v[104:105], s[26:27], v[42:43]
	v_pk_fma_f32 v[86:87], v[104:105], s[26:27], v[42:43] neg_lo:[1,0,0] neg_hi:[1,0,0]
	s_mov_b32 s28, s37
	v_pk_mul_f32 v[44:45], v[116:117], s[48:49]
	s_mov_b32 s31, 0x3f0a6770
	v_mov_b32_e32 v86, v54
	s_mov_b32 s46, s31
	s_mov_b32 s47, s39
	v_pk_add_f32 v[50:51], v[86:87], v[50:51]
	v_pk_fma_f32 v[86:87], v[106:107], s[28:29], v[44:45]
	v_pk_fma_f32 v[120:121], v[106:107], s[28:29], v[44:45] neg_lo:[1,0,0] neg_hi:[1,0,0]
	s_mov_b32 s30, s39
	v_pk_mul_f32 v[46:47], v[118:119], s[46:47]
	v_mov_b32_e32 v120, v86
	v_pk_add_f32 v[50:51], v[120:121], v[50:51]
	v_pk_fma_f32 v[120:121], v[108:109], s[30:31], v[46:47]
	v_pk_fma_f32 v[122:123], v[108:109], s[30:31], v[46:47] neg_lo:[1,0,0] neg_hi:[1,0,0]
	v_pk_mul_f32 v[124:125], v[112:113], s[44:45]
	v_mov_b32_e32 v122, v120
	v_pk_add_f32 v[50:51], v[122:123], v[50:51]
	v_pk_mul_f32 v[122:123], v[110:111], s[36:37]
	s_mov_b32 s45, 0x3f68dda4
	v_pk_fma_f32 v[132:133], v[100:101], s[22:23], v[122:123]
	v_pk_fma_f32 v[134:135], v[100:101], s[22:23], v[122:123] neg_lo:[1,0,0] neg_hi:[1,0,0]
	s_mov_b32 s34, s45
	v_mov_b32_e32 v134, v132
	v_pk_fma_f32 v[136:137], v[102:103], s[26:27], v[124:125]
	v_pk_fma_f32 v[138:139], v[102:103], s[26:27], v[124:125] neg_lo:[1,0,0] neg_hi:[1,0,0]
	s_mov_b32 s44, s35
	v_pk_mul_f32 v[126:127], v[114:115], s[34:35]
	v_pk_add_f32 v[134:135], v[36:37], v[134:135]
	v_mov_b32_e32 v138, v136
	v_pk_add_f32 v[134:135], v[138:139], v[134:135]
	v_pk_fma_f32 v[138:139], v[104:105], s[44:45], v[126:127]
	v_pk_fma_f32 v[148:149], v[104:105], s[44:45], v[126:127] neg_lo:[1,0,0] neg_hi:[1,0,0]
	v_pk_mul_f32 v[128:129], v[116:117], s[38:39]
	v_mov_b32_e32 v148, v138
	v_pk_add_f32 v[134:135], v[148:149], v[134:135]
	v_pk_fma_f32 v[148:149], v[106:107], s[0:1], v[128:129]
	v_pk_fma_f32 v[150:151], v[106:107], s[0:1], v[128:129] neg_lo:[1,0,0] neg_hi:[1,0,0]
	v_pk_mul_f32 v[130:131], v[118:119], s[40:41]
	;; [unrolled: 5-line block ×3, first 2 shown]
	v_mov_b32_e32 v152, v150
	v_pk_add_f32 v[134:135], v[152:153], v[134:135]
	ds_write2_b64 v57, v[50:51], v[134:135] offset0:2 offset1:3
	v_pk_mul_f32 v[50:51], v[110:111], s[40:41]
	v_pk_mul_f32 v[134:135], v[112:113], s[48:49]
	v_pk_fma_f32 v[158:159], v[100:101], s[20:21], v[50:51]
	v_pk_fma_f32 v[160:161], v[100:101], s[20:21], v[50:51] neg_lo:[1,0,0] neg_hi:[1,0,0]
	v_pk_fma_f32 v[162:163], v[102:103], s[28:29], v[134:135]
	v_mov_b32_e32 v160, v158
	v_pk_fma_f32 v[164:165], v[102:103], s[28:29], v[134:135] neg_lo:[1,0,0] neg_hi:[1,0,0]
	v_pk_mul_f32 v[152:153], v[114:115], s[38:39]
	v_pk_add_f32 v[160:161], v[36:37], v[160:161]
	v_mov_b32_e32 v164, v162
	v_pk_add_f32 v[160:161], v[164:165], v[160:161]
	v_pk_fma_f32 v[164:165], v[104:105], s[0:1], v[152:153]
	v_pk_fma_f32 v[166:167], v[104:105], s[0:1], v[152:153] neg_lo:[1,0,0] neg_hi:[1,0,0]
	v_pk_fma_f32 v[168:169], v[106:107], s[24:25], v[154:155] neg_lo:[1,0,0] neg_hi:[1,0,0]
	v_mov_b32_e32 v166, v164
	v_pk_add_f32 v[160:161], v[166:167], v[160:161]
	v_pk_fma_f32 v[166:167], v[106:107], s[24:25], v[154:155]
	v_pk_mul_f32 v[156:157], v[118:119], s[34:35]
	v_mov_b32_e32 v168, v166
	v_pk_add_f32 v[160:161], v[168:169], v[160:161]
	v_pk_fma_f32 v[168:169], v[108:109], s[44:45], v[156:157]
	v_pk_fma_f32 v[170:171], v[108:109], s[44:45], v[156:157] neg_lo:[1,0,0] neg_hi:[1,0,0]
	v_pk_mul_f32 v[110:111], v[110:111], s[42:43]
	v_mov_b32_e32 v170, v168
	v_pk_add_f32 v[160:161], v[170:171], v[160:161]
	v_pk_mul_f32 v[112:113], v[112:113], s[46:47]
	v_pk_fma_f32 v[170:171], v[100:101], s[24:25], v[110:111]
	v_pk_fma_f32 v[172:173], v[100:101], s[24:25], v[110:111] neg_lo:[1,0,0] neg_hi:[1,0,0]
	v_pk_fma_f32 v[110:111], v[100:101], s[24:25], v[110:111] neg_lo:[0,0,1] neg_hi:[0,0,1]
	v_mov_b32_e32 v172, v170
	v_pk_fma_f32 v[174:175], v[102:103], s[30:31], v[112:113]
	v_pk_fma_f32 v[176:177], v[102:103], s[30:31], v[112:113] neg_lo:[1,0,0] neg_hi:[1,0,0]
	v_mov_b32_e32 v111, v171
	v_pk_fma_f32 v[112:113], v[102:103], s[30:31], v[112:113] neg_lo:[0,0,1] neg_hi:[0,0,1]
	v_pk_mul_f32 v[114:115], v[114:115], s[40:41]
	v_pk_add_f32 v[172:173], v[36:37], v[172:173]
	v_mov_b32_e32 v176, v174
	v_pk_add_f32 v[110:111], v[36:37], v[110:111]
	v_mov_b32_e32 v113, v175
	v_pk_add_f32 v[172:173], v[176:177], v[172:173]
	v_pk_fma_f32 v[176:177], v[104:105], s[20:21], v[114:115]
	v_pk_fma_f32 v[178:179], v[104:105], s[20:21], v[114:115] neg_lo:[1,0,0] neg_hi:[1,0,0]
	v_pk_add_f32 v[110:111], v[112:113], v[110:111]
	v_pk_fma_f32 v[112:113], v[104:105], s[20:21], v[114:115] neg_lo:[0,0,1] neg_hi:[0,0,1]
	v_pk_mul_f32 v[116:117], v[116:117], s[34:35]
	v_mov_b32_e32 v178, v176
	v_mov_b32_e32 v113, v177
	v_pk_add_f32 v[172:173], v[178:179], v[172:173]
	v_pk_fma_f32 v[178:179], v[106:107], s[44:45], v[116:117]
	v_pk_fma_f32 v[180:181], v[106:107], s[44:45], v[116:117] neg_lo:[1,0,0] neg_hi:[1,0,0]
	v_pk_add_f32 v[110:111], v[112:113], v[110:111]
	v_pk_fma_f32 v[112:113], v[106:107], s[44:45], v[116:117] neg_lo:[0,0,1] neg_hi:[0,0,1]
	v_pk_mul_f32 v[118:119], v[118:119], s[36:37]
	v_mov_b32_e32 v180, v178
	v_mov_b32_e32 v113, v179
	v_pk_add_f32 v[172:173], v[180:181], v[172:173]
	v_pk_fma_f32 v[180:181], v[108:109], s[22:23], v[118:119]
	v_pk_add_f32 v[110:111], v[112:113], v[110:111]
	v_pk_fma_f32 v[112:113], v[108:109], s[22:23], v[118:119] neg_lo:[0,0,1] neg_hi:[0,0,1]
	v_pk_fma_f32 v[50:51], v[100:101], s[20:21], v[50:51] neg_lo:[0,0,1] neg_hi:[0,0,1]
	v_mov_b32_e32 v113, v181
	v_pk_add_f32 v[110:111], v[112:113], v[110:111]
	v_mov_b32_e32 v51, v159
	v_pk_fma_f32 v[112:113], v[102:103], s[28:29], v[134:135] neg_lo:[0,0,1] neg_hi:[0,0,1]
	v_pk_add_f32 v[50:51], v[36:37], v[50:51]
	v_mov_b32_e32 v113, v163
	v_pk_add_f32 v[50:51], v[112:113], v[50:51]
	v_pk_fma_f32 v[112:113], v[104:105], s[0:1], v[152:153] neg_lo:[0,0,1] neg_hi:[0,0,1]
	v_pk_fma_f32 v[38:39], v[100:101], s[14:15], v[38:39] neg_lo:[0,0,1] neg_hi:[0,0,1]
	v_mov_b32_e32 v113, v165
	v_pk_add_f32 v[50:51], v[112:113], v[50:51]
	v_pk_fma_f32 v[112:113], v[106:107], s[24:25], v[154:155] neg_lo:[0,0,1] neg_hi:[0,0,1]
	v_mov_b32_e32 v39, v49
	v_mov_b32_e32 v113, v167
	v_pk_add_f32 v[50:51], v[112:113], v[50:51]
	v_pk_fma_f32 v[112:113], v[108:109], s[44:45], v[156:157] neg_lo:[0,0,1] neg_hi:[0,0,1]
	v_pk_fma_f32 v[182:183], v[108:109], s[22:23], v[118:119] neg_lo:[1,0,0] neg_hi:[1,0,0]
	v_mov_b32_e32 v113, v169
	v_pk_add_f32 v[50:51], v[112:113], v[50:51]
	ds_write2_b64 v57, v[110:111], v[50:51] offset0:6 offset1:7
	v_pk_fma_f32 v[50:51], v[100:101], s[22:23], v[122:123] neg_lo:[0,0,1] neg_hi:[0,0,1]
	v_pk_fma_f32 v[110:111], v[102:103], s[26:27], v[124:125] neg_lo:[0,0,1] neg_hi:[0,0,1]
	v_mov_b32_e32 v51, v133
	v_pk_add_f32 v[50:51], v[36:37], v[50:51]
	v_pk_add_f32 v[36:37], v[36:37], v[38:39]
	v_pk_fma_f32 v[38:39], v[102:103], s[20:21], v[40:41] neg_lo:[0,0,1] neg_hi:[0,0,1]
	v_mov_b32_e32 v111, v137
	v_mov_b32_e32 v39, v53
	v_pk_add_f32 v[50:51], v[110:111], v[50:51]
	v_pk_fma_f32 v[110:111], v[104:105], s[44:45], v[126:127] neg_lo:[0,0,1] neg_hi:[0,0,1]
	v_pk_add_f32 v[36:37], v[38:39], v[36:37]
	v_pk_fma_f32 v[38:39], v[104:105], s[26:27], v[42:43] neg_lo:[0,0,1] neg_hi:[0,0,1]
	v_mov_b32_e32 v111, v139
	v_mov_b32_e32 v39, v55
	v_pk_add_f32 v[50:51], v[110:111], v[50:51]
	v_pk_fma_f32 v[110:111], v[106:107], s[0:1], v[128:129] neg_lo:[0,0,1] neg_hi:[0,0,1]
	;; [unrolled: 6-line block ×3, first 2 shown]
	v_pk_add_f32 v[36:37], v[38:39], v[36:37]
	v_pk_fma_f32 v[38:39], v[108:109], s[30:31], v[46:47] neg_lo:[0,0,1] neg_hi:[0,0,1]
	v_mov_b32_e32 v182, v180
	v_mov_b32_e32 v111, v151
	v_mov_b32_e32 v39, v121
	v_pk_add_f32 v[172:173], v[182:183], v[172:173]
	v_pk_add_f32 v[50:51], v[110:111], v[50:51]
	;; [unrolled: 1-line block ×3, first 2 shown]
	ds_write2_b64 v57, v[160:161], v[172:173] offset0:4 offset1:5
	ds_write2_b64 v57, v[50:51], v[36:37] offset0:8 offset1:9
	ds_write_b64 v57, v[98:99] offset:80
.LBB0_17:
	s_or_b64 exec, exec, s[18:19]
	v_add_u32_e32 v36, 0x2400, v59
	s_waitcnt lgkmcnt(0)
	s_barrier
	ds_read2_b64 v[36:39], v36 offset0:80 offset1:234
	v_add_u32_e32 v40, 0x800, v59
	ds_read2_b64 v[42:45], v40 offset0:52 offset1:206
	v_add_u32_e32 v50, 0x1c00, v59
	ds_read2_b64 v[50:53], v50 offset0:28 offset1:182
	s_waitcnt lgkmcnt(2)
	v_pk_mul_f32 v[40:41], v[70:71], v[36:37]
                                        ; implicit-def: $vgpr86_vgpr87
	s_waitcnt lgkmcnt(0)
	v_pk_mul_f32 v[62:63], v[62:63], v[50:51]
	v_pk_fma_f32 v[46:47], v[96:97], v[36:37], v[40:41] op_sel:[0,0,1] op_sel_hi:[1,1,0]
	v_pk_fma_f32 v[36:37], v[96:97], v[36:37], v[40:41] op_sel:[0,0,1] op_sel_hi:[1,1,0] neg_lo:[0,0,1] neg_hi:[0,0,1]
	v_add_u32_e32 v40, 0x1200, v59
	v_mov_b32_e32 v47, v37
	v_pk_add_f32 v[36:37], v[44:45], v[46:47] neg_lo:[0,1] neg_hi:[0,1]
	ds_read2_b64 v[46:49], v40 offset0:40 offset1:194
	v_pk_mul_f32 v[40:41], v[68:69], v[38:39]
	s_nop 0
	v_pk_fma_f32 v[54:55], v[94:95], v[38:39], v[40:41] op_sel:[0,0,1] op_sel_hi:[1,1,0]
	v_pk_fma_f32 v[38:39], v[94:95], v[38:39], v[40:41] op_sel:[0,0,1] op_sel_hi:[1,1,0] neg_lo:[0,0,1] neg_hi:[0,0,1]
	s_nop 0
	v_mov_b32_e32 v55, v39
	v_pk_mul_f32 v[38:39], v[66:67], v[52:53]
	s_waitcnt lgkmcnt(0)
	v_pk_add_f32 v[40:41], v[46:47], v[54:55] neg_lo:[0,1] neg_hi:[0,1]
	v_pk_fma_f32 v[54:55], v[92:93], v[52:53], v[38:39] op_sel:[0,0,1] op_sel_hi:[1,1,0]
	v_pk_fma_f32 v[38:39], v[92:93], v[52:53], v[38:39] op_sel:[0,0,1] op_sel_hi:[1,1,0] neg_lo:[0,0,1] neg_hi:[0,0,1]
	v_pk_fma_f32 v[66:67], v[90:91], v[50:51], v[62:63] op_sel:[0,0,1] op_sel_hi:[1,1,0]
	v_mov_b32_e32 v55, v39
	v_pk_add_f32 v[38:39], v[42:43], v[54:55] neg_lo:[0,1] neg_hi:[0,1]
	ds_read2_b64 v[52:55], v59 offset1:154
	v_pk_fma_f32 v[50:51], v[90:91], v[50:51], v[62:63] op_sel:[0,0,1] op_sel_hi:[1,1,0] neg_lo:[0,0,1] neg_hi:[0,0,1]
	v_pk_mul_f32 v[62:63], v[64:65], v[48:49]
	v_mov_b32_e32 v67, v51
	v_pk_fma_f32 v[64:65], v[88:89], v[48:49], v[62:63] op_sel:[0,0,1] op_sel_hi:[1,1,0]
	v_pk_fma_f32 v[48:49], v[88:89], v[48:49], v[62:63] op_sel:[0,0,1] op_sel_hi:[1,1,0] neg_lo:[0,0,1] neg_hi:[0,0,1]
	s_waitcnt lgkmcnt(0)
	v_pk_add_f32 v[50:51], v[54:55], v[66:67] neg_lo:[0,1] neg_hi:[0,1]
	v_mov_b32_e32 v65, v49
	v_pk_add_f32 v[48:49], v[52:53], v[64:65] neg_lo:[0,1] neg_hi:[0,1]
	s_nop 0
	v_pk_fma_f32 v[52:53], v[52:53], 2.0, v[48:49] op_sel_hi:[1,0,1] neg_lo:[0,0,1] neg_hi:[0,0,1]
	s_barrier
	ds_write2_b64 v144, v[52:53], v[48:49] offset1:11
	v_pk_fma_f32 v[48:49], v[54:55], 2.0, v[50:51] op_sel_hi:[1,0,1] neg_lo:[0,0,1] neg_hi:[0,0,1]
	v_pk_fma_f32 v[42:43], v[42:43], 2.0, v[38:39] op_sel_hi:[1,0,1] neg_lo:[0,0,1] neg_hi:[0,0,1]
	ds_write2_b64 v142, v[48:49], v[50:51] offset1:11
	ds_write2_b64 v143, v[42:43], v[38:39] offset1:11
	v_pk_fma_f32 v[38:39], v[44:45], 2.0, v[36:37] op_sel_hi:[1,0,1] neg_lo:[0,0,1] neg_hi:[0,0,1]
	ds_write2_b64 v145, v[38:39], v[36:37] offset1:11
	v_pk_fma_f32 v[38:39], v[46:47], 2.0, v[40:41] op_sel_hi:[1,0,1] neg_lo:[0,0,1] neg_hi:[0,0,1]
	v_add_u32_e32 v42, 0xd00, v59
	ds_write2_b64 v146, v[38:39], v[40:41] offset1:11
	s_waitcnt lgkmcnt(0)
	s_barrier
	ds_read2_b64 v[52:55], v42 offset0:24 offset1:244
	v_add_u32_e32 v42, 0x1b00, v59
	ds_read2_b64 v[44:47], v59 offset1:220
	ds_read2_b64 v[48:51], v42 offset0:16 offset1:236
	ds_read_b64 v[92:93], v59 offset:10560
                                        ; implicit-def: $vgpr90_vgpr91
                                        ; implicit-def: $vgpr88_vgpr89
	s_and_saveexec_b64 s[0:1], s[4:5]
	s_xor_b64 s[0:1], exec, s[0:1]
; %bb.18:
	v_mov_b32_e32 v81, v99
	v_mov_b32_e32 v88, v85
	;; [unrolled: 1-line block ×7, first 2 shown]
; %bb.19:
	s_andn2_saveexec_b64 s[0:1], s[0:1]
	s_cbranch_execz .LBB0_21
; %bb.20:
	v_add_u32_e32 v32, 0x400, v59
	v_add_u32_e32 v33, 0x1200, v59
	ds_read_b64 v[62:63], v59 offset:11792
	ds_read2_b64 v[40:43], v33 offset0:18 offset1:238
	ds_read2_b64 v[36:39], v32 offset0:26 offset1:246
	v_add_u32_e32 v32, 0x2000, v59
	ds_read2_b64 v[32:35], v32 offset0:10 offset1:230
	s_waitcnt lgkmcnt(3)
	v_mov_b32_e32 v80, v62
	s_waitcnt lgkmcnt(2)
	v_mov_b32_e32 v81, v43
	v_mov_b32_e32 v88, v63
	;; [unrolled: 1-line block ×3, first 2 shown]
	s_waitcnt lgkmcnt(1)
	v_mov_b32_e32 v86, v38
	s_waitcnt lgkmcnt(0)
	v_mov_b32_e32 v87, v33
	v_mov_b32_e32 v90, v39
	;; [unrolled: 1-line block ×3, first 2 shown]
.LBB0_21:
	s_or_b64 exec, exec, s[0:1]
	s_waitcnt lgkmcnt(3)
	v_pk_mul_f32 v[104:105], v[28:29], v[54:55] op_sel:[0,1] op_sel_hi:[1,0]
	s_waitcnt lgkmcnt(2)
	v_pk_mul_f32 v[84:85], v[24:25], v[46:47] op_sel_hi:[1,0]
	v_mov_b32_e32 v94, v47
	v_mov_b32_e32 v104, v105
	s_waitcnt lgkmcnt(1)
	v_pk_mul_f32 v[106:107], v[30:31], v[48:49] op_sel:[0,1] op_sel_hi:[1,0]
	v_pk_mul_f32 v[96:97], v[26:27], v[52:53] op_sel_hi:[1,0]
	v_mov_b32_e32 v98, v53
	v_pk_mul_f32 v[100:101], v[28:29], v[54:55]
	v_mov_b32_e32 v102, v29
	v_pk_fma_f32 v[28:29], v[28:29], v[54:55], v[104:105] op_sel:[0,1,0] op_sel_hi:[1,0,1] neg_lo:[0,0,1] neg_hi:[0,0,1]
	v_mov_b32_e32 v104, v31
	v_mov_b32_e32 v106, v107
	v_pk_fma_f32 v[94:95], v[24:25], v[94:95], v[84:85] op_sel:[0,0,1] op_sel_hi:[1,1,0] neg_lo:[0,0,1] neg_hi:[0,0,1]
	v_pk_fma_f32 v[24:25], v[24:25], v[46:47], v[84:85] op_sel:[0,1,1] op_sel_hi:[1,1,0]
	v_pk_mul_f32 v[102:103], v[102:103], v[54:55] op_sel:[0,1] op_sel_hi:[1,0]
	v_pk_mul_f32 v[54:55], v[30:31], v[48:49]
	v_pk_mul_f32 v[104:105], v[104:105], v[48:49] op_sel:[0,1] op_sel_hi:[1,0]
	v_pk_fma_f32 v[30:31], v[30:31], v[48:49], v[106:107] op_sel:[0,1,0] op_sel_hi:[1,0,1] neg_lo:[0,0,1] neg_hi:[0,0,1]
	v_pk_mul_f32 v[48:49], v[12:13], v[50:51] op_sel_hi:[1,0]
	v_mov_b32_e32 v106, v51
	v_mov_b32_e32 v95, v25
	v_pk_fma_f32 v[24:25], v[26:27], v[98:99], v[96:97] op_sel:[0,0,1] op_sel_hi:[1,1,0] neg_lo:[0,0,1] neg_hi:[0,0,1]
	v_pk_fma_f32 v[26:27], v[26:27], v[52:53], v[96:97] op_sel:[0,1,1] op_sel_hi:[1,1,0]
	s_waitcnt lgkmcnt(0)
	v_pk_mul_f32 v[108:109], v[14:15], v[92:93] op_sel_hi:[1,0]
	v_mov_b32_e32 v110, v93
	v_mov_b32_e32 v25, v27
	v_pk_fma_f32 v[26:27], v[12:13], v[106:107], v[48:49] op_sel:[0,0,1] op_sel_hi:[1,1,0] neg_lo:[0,0,1] neg_hi:[0,0,1]
	v_pk_fma_f32 v[12:13], v[12:13], v[50:51], v[48:49] op_sel:[0,1,1] op_sel_hi:[1,1,0]
	v_mov_b32_e32 v55, v94
	v_mov_b32_e32 v27, v13
	v_pk_fma_f32 v[12:13], v[14:15], v[110:111], v[108:109] op_sel:[0,0,1] op_sel_hi:[1,1,0] neg_lo:[0,0,1] neg_hi:[0,0,1]
	v_pk_fma_f32 v[14:15], v[14:15], v[92:93], v[108:109] op_sel:[0,1,1] op_sel_hi:[1,1,0]
	v_mov_b32_e32 v105, v12
	v_mov_b32_e32 v13, v15
	;; [unrolled: 1-line block ×4, first 2 shown]
	v_pk_add_f32 v[14:15], v[94:95], v[12:13]
	v_pk_add_f32 v[46:47], v[94:95], v[12:13] neg_lo:[0,1] neg_hi:[0,1]
	v_pk_add_f32 v[48:49], v[24:25], v[26:27]
	v_pk_add_f32 v[50:51], v[24:25], v[26:27] neg_lo:[0,1] neg_hi:[0,1]
	v_pk_add_f32 v[12:13], v[54:55], v[104:105]
	v_pk_add_f32 v[24:25], v[100:101], v[102:103]
	v_mov_b32_e32 v31, v12
	v_mov_b32_e32 v29, v24
	v_pk_add_f32 v[26:27], v[30:31], v[28:29] neg_lo:[0,1] neg_hi:[0,1]
	v_mov_b32_e32 v92, v49
	v_mov_b32_e32 v93, v28
	;; [unrolled: 1-line block ×4, first 2 shown]
	v_pk_add_f32 v[28:29], v[92:93], v[28:29]
	v_pk_add_f32 v[30:31], v[24:25], v[12:13]
	v_mov_b32_e32 v52, v26
	v_mov_b32_e32 v53, v47
	;; [unrolled: 1-line block ×4, first 2 shown]
	s_mov_b32 s4, 0x3f08b237
	v_mov_b32_e32 v12, v30
	v_mov_b32_e32 v93, v29
	s_mov_b32 s26, 0x3d64c772
	v_pk_add_f32 v[52:53], v[52:53], v[54:55] neg_lo:[0,1] neg_hi:[0,1]
	s_mov_b32 s5, 0xbeae86e6
	v_mov_b32_e32 v54, v46
	v_mov_b32_e32 v84, v26
	;; [unrolled: 1-line block ×3, first 2 shown]
	v_pk_add_f32 v[92:93], v[12:13], v[92:93] neg_lo:[0,1] neg_hi:[0,1]
	v_mov_b32_e32 v94, v15
	v_mov_b32_e32 v95, v29
	;; [unrolled: 1-line block ×3, first 2 shown]
	v_pk_add_f32 v[28:29], v[28:29], v[30:31]
	s_mov_b32 s27, 0x3f4a47b2
	v_pk_mul_f32 v[52:53], v[52:53], s[4:5]
	v_pk_add_f32 v[54:55], v[54:55], v[84:85] neg_lo:[0,1] neg_hi:[0,1]
	s_mov_b32 s14, s5
	s_mov_b32 s15, s4
	v_pk_add_f32 v[26:27], v[26:27], v[50:51]
	v_pk_add_f32 v[94:95], v[94:95], v[24:25] neg_lo:[0,1] neg_hi:[0,1]
	v_pk_add_f32 v[30:31], v[44:45], v[28:29]
	s_mov_b32 s24, 0xbf955555
	v_pk_mul_f32 v[44:45], v[92:93], s[26:27]
	s_mov_b32 s28, s27
	s_mov_b32 s29, s26
	v_pk_mul_f32 v[84:85], v[54:55], s[14:15]
	v_pk_add_f32 v[26:27], v[26:27], v[46:47]
	s_mov_b32 s0, 0xbee1c552
	v_pk_mul_f32 v[92:93], v[94:95], s[28:29]
	v_pk_fma_f32 v[28:29], v[28:29], s[24:25], v[30:31] op_sel_hi:[1,0,1]
	v_pk_fma_f32 v[94:95], v[94:95], s[28:29], v[44:45]
	v_pk_fma_f32 v[54:55], v[54:55], s[14:15], v[52:53]
	v_pk_add_f32 v[94:95], v[94:95], v[28:29]
	v_pk_fma_f32 v[54:55], v[26:27], s[0:1], v[54:55] op_sel_hi:[1,0,1]
	v_mov_b32_e32 v24, v49
	v_pk_add_f32 v[96:97], v[94:95], v[54:55]
	v_pk_add_f32 v[54:55], v[94:95], v[54:55] neg_lo:[0,1] neg_hi:[0,1]
	v_mov_b32_e32 v94, v96
	v_mov_b32_e32 v95, v55
	;; [unrolled: 1-line block ×3, first 2 shown]
	s_barrier
	ds_write2_b64 v147, v[30:31], v[94:95] offset1:22
	v_pk_add_f32 v[30:31], v[50:51], v[46:47] neg_lo:[0,1] neg_hi:[0,1]
	s_mov_b32 s18, 0xbf5ff5aa
	v_pk_add_f32 v[12:13], v[24:25], v[12:13] neg_lo:[0,1] neg_hi:[0,1]
	s_mov_b32 s20, 0x3f3bfb3b
	v_mov_b32_e32 v14, v92
	v_mov_b32_e32 v15, v45
	;; [unrolled: 1-line block ×6, first 2 shown]
	v_pk_fma_f32 v[14:15], v[12:13], s[20:21], v[14:15] op_sel_hi:[1,0,1] neg_lo:[1,0,1] neg_hi:[1,0,1]
	v_pk_fma_f32 v[24:25], v[30:31], s[18:19], v[24:25] op_sel_hi:[1,0,1] neg_lo:[1,0,1] neg_hi:[1,0,1]
	;; [unrolled: 1-line block ×4, first 2 shown]
	v_pk_add_f32 v[14:15], v[14:15], v[28:29]
	v_pk_fma_f32 v[24:25], v[26:27], s[0:1], v[24:25] op_sel_hi:[1,0,1]
	v_pk_add_f32 v[12:13], v[12:13], v[28:29]
	v_pk_fma_f32 v[26:27], v[26:27], s[0:1], v[30:31] op_sel_hi:[1,0,1]
	v_pk_add_f32 v[46:47], v[14:15], v[24:25]
	v_pk_add_f32 v[14:15], v[14:15], v[24:25] neg_lo:[0,1] neg_hi:[0,1]
	v_pk_add_f32 v[28:29], v[12:13], v[26:27] neg_lo:[0,1] neg_hi:[0,1]
	v_pk_add_f32 v[12:13], v[12:13], v[26:27]
	v_mov_b32_e32 v70, v20
	v_mov_b32_e32 v71, v20
	;; [unrolled: 1-line block ×31, first 2 shown]
	ds_write2_b64 v147, v[24:25], v[26:27] offset0:44 offset1:66
	ds_write2_b64 v147, v[12:13], v[14:15] offset0:88 offset1:110
	ds_write_b64 v147, v[54:55] offset:1056
	s_and_saveexec_b64 s[22:23], s[2:3]
	s_cbranch_execz .LBB0_23
; %bb.22:
	v_mov_b32_e32 v46, v3
	v_mov_b32_e32 v47, v11
	;; [unrolled: 1-line block ×5, first 2 shown]
	v_pk_mul_f32 v[46:47], v[46:47], v[48:49]
	v_mov_b32_e32 v49, v4
	v_mov_b32_e32 v55, v5
	v_pk_mul_f32 v[10:11], v[10:11], v[40:41]
	v_pk_mul_f32 v[4:5], v[4:5], v[34:35]
	v_mov_b32_e32 v53, v35
	v_mov_b32_e32 v85, v34
	;; [unrolled: 1-line block ×5, first 2 shown]
	v_pk_add_f32 v[4:5], v[34:35], v[10:11]
	v_mov_b32_e32 v10, v7
	v_pk_mul_f32 v[10:11], v[10:11], v[80:81]
	v_mov_b32_e32 v24, v6
	v_mov_b32_e32 v26, v7
	v_pk_fma_f32 v[6:7], v[6:7], v[88:89], v[10:11] neg_lo:[0,0,1] neg_hi:[0,0,1]
	v_mov_b32_e32 v10, v9
	v_mov_b32_e32 v14, v9
	;; [unrolled: 1-line block ×6, first 2 shown]
	v_pk_mul_f32 v[10:11], v[10:11], v[86:87]
	v_mov_b32_e32 v12, v8
	v_mov_b32_e32 v13, v2
	v_pk_mul_f32 v[14:15], v[14:15], v[90:91]
	v_mov_b32_e32 v25, v0
	v_pk_mul_f32 v[26:27], v[26:27], v[88:89]
	v_mov_b32_e32 v28, v2
	v_mov_b32_e32 v30, v91
	;; [unrolled: 1-line block ×7, first 2 shown]
	v_pk_mul_f32 v[54:55], v[54:55], v[84:85]
	v_pk_fma_f32 v[8:9], v[8:9], v[90:91], v[10:11] neg_lo:[0,0,1] neg_hi:[0,0,1]
	s_movk_i32 s1, 0x9a
	v_pk_add_f32 v[10:11], v[6:7], v[8:9]
	v_mad_legacy_u16 v7, v61, s1, v140
	v_pk_fma_f32 v[40:41], v[24:25], v[80:81], v[26:27]
	v_pk_fma_f32 v[24:25], v[24:25], v[80:81], v[26:27] neg_lo:[0,0,1] neg_hi:[0,0,1]
	v_pk_fma_f32 v[26:27], v[12:13], v[86:87], v[14:15]
	v_pk_fma_f32 v[12:13], v[12:13], v[86:87], v[14:15] neg_lo:[0,0,1] neg_hi:[0,0,1]
	;; [unrolled: 2-line block ×4, first 2 shown]
	v_mov_b32_e32 v34, v5
	v_lshlrev_b32_e32 v57, 3, v7
	v_mov_b32_e32 v41, v25
	v_mov_b32_e32 v27, v13
	;; [unrolled: 1-line block ×6, first 2 shown]
	v_pk_add_f32 v[34:35], v[4:5], v[34:35]
	v_pk_add_f32 v[30:31], v[40:41], v[26:27]
	;; [unrolled: 1-line block ×3, first 2 shown]
	v_pk_add_f32 v[6:7], v[8:9], v[6:7] neg_lo:[0,1] neg_hi:[0,1]
	v_mov_b32_e32 v8, v13
	v_mov_b32_e32 v9, v2
	;; [unrolled: 1-line block ×7, first 2 shown]
	v_pk_add_f32 v[0:1], v[8:9], v[2:3] neg_lo:[0,1] neg_hi:[0,1]
	v_mov_b32_e32 v2, v29
	v_mov_b32_e32 v3, v5
	;; [unrolled: 1-line block ×4, first 2 shown]
	v_pk_add_f32 v[50:51], v[50:51], v[34:35] neg_lo:[0,1] neg_hi:[0,1]
	v_mov_b32_e32 v35, v45
	v_mov_b32_e32 v52, v30
	;; [unrolled: 1-line block ×3, first 2 shown]
	v_pk_add_f32 v[2:3], v[2:3], v[8:9] neg_lo:[0,1] neg_hi:[0,1]
	v_pk_add_f32 v[46:47], v[30:31], v[44:45] neg_lo:[0,1] neg_hi:[0,1]
	v_pk_add_f32 v[10:11], v[34:35], v[52:53]
	v_mov_b32_e32 v45, v31
	v_mov_b32_e32 v12, v0
	;; [unrolled: 1-line block ×5, first 2 shown]
	v_pk_add_f32 v[10:11], v[44:45], v[10:11]
	v_mov_b32_e32 v4, v6
	v_mov_b32_e32 v5, v1
	;; [unrolled: 1-line block ×4, first 2 shown]
	v_pk_add_f32 v[12:13], v[12:13], v[14:15] neg_lo:[0,1] neg_hi:[0,1]
	v_pk_mul_f32 v[50:51], v[50:51], s[26:27]
	v_pk_add_f32 v[30:31], v[36:37], v[10:11]
	v_pk_add_f32 v[4:5], v[4:5], v[8:9] neg_lo:[0,1] neg_hi:[0,1]
	v_pk_mul_f32 v[12:13], v[12:13], s[4:5]
	v_pk_add_f32 v[0:1], v[0:1], v[2:3]
	v_pk_mul_f32 v[48:49], v[46:47], s[28:29]
	v_pk_fma_f32 v[46:47], v[46:47], s[28:29], v[50:51]
	v_pk_fma_f32 v[10:11], v[10:11], s[24:25], v[30:31] op_sel_hi:[1,0,1]
	v_pk_mul_f32 v[8:9], v[4:5], s[14:15]
	v_pk_fma_f32 v[4:5], v[4:5], s[14:15], v[12:13]
	v_pk_add_f32 v[0:1], v[0:1], v[6:7]
	v_pk_add_f32 v[36:37], v[46:47], v[10:11]
	v_pk_fma_f32 v[4:5], v[0:1], s[0:1], v[4:5] op_sel_hi:[1,0,1]
	v_pk_add_f32 v[2:3], v[2:3], v[6:7] neg_lo:[0,1] neg_hi:[0,1]
	v_pk_add_f32 v[14:15], v[36:37], v[4:5] neg_lo:[0,1] neg_hi:[0,1]
	v_pk_add_f32 v[4:5], v[36:37], v[4:5]
	v_mov_b32_e32 v25, v15
	v_mov_b32_e32 v24, v4
	;; [unrolled: 1-line block ×5, first 2 shown]
	ds_write2_b64 v57, v[30:31], v[24:25] offset1:22
	v_mov_b32_e32 v24, v48
	v_mov_b32_e32 v25, v51
	v_pk_add_f32 v[26:27], v[34:35], v[52:53] neg_lo:[0,1] neg_hi:[0,1]
	v_pk_fma_f32 v[6:7], v[2:3], s[18:19], v[6:7] op_sel_hi:[1,0,1] neg_lo:[1,0,1] neg_hi:[1,0,1]
	v_pk_fma_f32 v[2:3], v[2:3], s[18:19], v[12:13] op_sel_hi:[1,0,1] neg_lo:[0,0,1] neg_hi:[0,0,1]
	v_mov_b32_e32 v51, v49
	v_pk_fma_f32 v[24:25], v[26:27], s[20:21], v[24:25] op_sel_hi:[1,0,1] neg_lo:[1,0,1] neg_hi:[1,0,1]
	v_pk_fma_f32 v[6:7], v[0:1], s[0:1], v[6:7] op_sel_hi:[1,0,1]
	v_pk_fma_f32 v[0:1], v[0:1], s[0:1], v[2:3] op_sel_hi:[1,0,1]
	v_pk_fma_f32 v[2:3], v[26:27], s[20:21], v[50:51] op_sel_hi:[1,0,1] neg_lo:[0,0,1] neg_hi:[0,0,1]
	v_pk_add_f32 v[24:25], v[24:25], v[10:11]
	v_pk_add_f32 v[2:3], v[2:3], v[10:11]
	v_pk_add_f32 v[28:29], v[24:25], v[6:7] neg_lo:[0,1] neg_hi:[0,1]
	v_pk_add_f32 v[6:7], v[24:25], v[6:7]
	v_pk_add_f32 v[8:9], v[2:3], v[0:1]
	v_pk_add_f32 v[0:1], v[2:3], v[0:1] neg_lo:[0,1] neg_hi:[0,1]
	v_mov_b32_e32 v24, v6
	v_mov_b32_e32 v25, v29
	;; [unrolled: 1-line block ×7, first 2 shown]
	ds_write2_b64 v57, v[24:25], v[2:3] offset0:44 offset1:66
	ds_write2_b64 v57, v[8:9], v[28:29] offset0:88 offset1:110
	ds_write_b64 v57, v[14:15] offset:1056
.LBB0_23:
	s_or_b64 exec, exec, s[22:23]
	v_add_u32_e32 v50, 0x800, v59
	s_waitcnt lgkmcnt(0)
	s_barrier
	ds_read2_b64 v[4:7], v50 offset0:52 offset1:206
	v_add_u32_e32 v51, 0x1200, v59
	ds_read2_b64 v[8:11], v51 offset0:40 offset1:194
	v_add_u32_e32 v52, 0x1c00, v59
	ds_read2_b64 v[12:15], v52 offset0:28 offset1:182
	v_add_u32_e32 v53, 0x2400, v59
	s_waitcnt lgkmcnt(2)
	v_pk_mul_f32 v[28:29], v[20:21], v[4:5]
	ds_read2_b64 v[24:27], v53 offset0:80 offset1:234
	v_pk_fma_f32 v[30:31], v[70:71], v[4:5], v[28:29] op_sel:[0,0,1] op_sel_hi:[1,1,0]
	v_pk_fma_f32 v[4:5], v[70:71], v[4:5], v[28:29] op_sel:[0,0,1] op_sel_hi:[1,1,0] neg_lo:[0,0,1] neg_hi:[0,0,1]
	ds_read2_b64 v[0:3], v59 offset1:154
	v_mov_b32_e32 v31, v5
	s_waitcnt lgkmcnt(3)
	v_pk_mul_f32 v[4:5], v[22:23], v[8:9]
	s_mov_b32 s0, 0x3f737871
	v_pk_fma_f32 v[28:29], v[68:69], v[8:9], v[4:5] op_sel:[0,0,1] op_sel_hi:[1,1,0]
	v_pk_fma_f32 v[4:5], v[68:69], v[8:9], v[4:5] op_sel:[0,0,1] op_sel_hi:[1,1,0] neg_lo:[0,0,1] neg_hi:[0,0,1]
	s_mov_b32 s2, 0x3f167918
	v_mov_b32_e32 v29, v5
	s_waitcnt lgkmcnt(2)
	v_pk_mul_f32 v[4:5], v[16:17], v[12:13]
	v_pk_add_f32 v[46:47], v[30:31], v[28:29] neg_lo:[0,1] neg_hi:[0,1]
	v_pk_fma_f32 v[8:9], v[66:67], v[12:13], v[4:5] op_sel:[0,0,1] op_sel_hi:[1,1,0]
	v_pk_fma_f32 v[4:5], v[66:67], v[12:13], v[4:5] op_sel:[0,0,1] op_sel_hi:[1,1,0] neg_lo:[0,0,1] neg_hi:[0,0,1]
	s_mov_b32 s4, 0x3e9e377a
	v_mov_b32_e32 v9, v5
	s_waitcnt lgkmcnt(1)
	v_pk_mul_f32 v[4:5], v[18:19], v[24:25]
	v_pk_add_f32 v[40:41], v[28:29], v[8:9] neg_lo:[0,1] neg_hi:[0,1]
	v_pk_fma_f32 v[12:13], v[64:65], v[24:25], v[4:5] op_sel:[0,0,1] op_sel_hi:[1,1,0]
	v_pk_fma_f32 v[4:5], v[64:65], v[24:25], v[4:5] op_sel:[0,0,1] op_sel_hi:[1,1,0] neg_lo:[0,0,1] neg_hi:[0,0,1]
	v_pk_add_f32 v[24:25], v[28:29], v[8:9]
	v_mov_b32_e32 v13, v5
	v_pk_add_f32 v[34:35], v[30:31], v[12:13] neg_lo:[0,1] neg_hi:[0,1]
	s_waitcnt lgkmcnt(0)
	v_pk_add_f32 v[4:5], v[0:1], v[30:31]
	v_pk_fma_f32 v[24:25], v[24:25], 0.5, v[0:1] op_sel_hi:[1,0,1] neg_lo:[1,0,0] neg_hi:[1,0,0]
	v_pk_mul_f32 v[36:37], v[34:35], s[0:1] op_sel_hi:[1,0]
	v_pk_add_f32 v[48:49], v[12:13], v[8:9] neg_lo:[0,1] neg_hi:[0,1]
	v_pk_add_f32 v[4:5], v[4:5], v[28:29]
	v_pk_mul_f32 v[44:45], v[40:41], s[2:3] op_sel_hi:[1,0]
	v_pk_add_f32 v[46:47], v[46:47], v[48:49]
	v_pk_add_f32 v[48:49], v[24:25], v[36:37] op_sel:[0,1] op_sel_hi:[1,0] neg_lo:[0,1] neg_hi:[0,1]
	v_pk_add_f32 v[4:5], v[4:5], v[8:9]
	v_pk_add_f32 v[24:25], v[24:25], v[36:37] op_sel:[0,1] op_sel_hi:[1,0]
	v_pk_add_f32 v[36:37], v[48:49], v[44:45] op_sel:[0,1] op_sel_hi:[1,0] neg_lo:[0,1] neg_hi:[0,1]
	v_pk_add_f32 v[48:49], v[30:31], v[12:13]
	v_pk_add_f32 v[4:5], v[4:5], v[12:13]
	v_pk_fma_f32 v[0:1], v[48:49], 0.5, v[0:1] op_sel_hi:[1,0,1] neg_lo:[1,0,0] neg_hi:[1,0,0]
	v_pk_add_f32 v[28:29], v[28:29], v[30:31] neg_lo:[0,1] neg_hi:[0,1]
	v_pk_add_f32 v[8:9], v[8:9], v[12:13] neg_lo:[0,1] neg_hi:[0,1]
	v_pk_mul_f32 v[12:13], v[40:41], s[0:1] op_sel_hi:[1,0]
	v_pk_add_f32 v[8:9], v[28:29], v[8:9]
	v_pk_mul_f32 v[28:29], v[34:35], s[2:3] op_sel_hi:[1,0]
	v_pk_add_f32 v[30:31], v[0:1], v[12:13] op_sel:[0,1] op_sel_hi:[1,0]
	v_pk_add_f32 v[0:1], v[0:1], v[12:13] op_sel:[0,1] op_sel_hi:[1,0] neg_lo:[0,1] neg_hi:[0,1]
	v_pk_add_f32 v[12:13], v[30:31], v[28:29] op_sel:[0,1] op_sel_hi:[1,0] neg_lo:[0,1] neg_hi:[0,1]
	v_pk_add_f32 v[0:1], v[0:1], v[28:29] op_sel:[0,1] op_sel_hi:[1,0]
	v_mov_b32_e32 v28, v12
	v_mov_b32_e32 v29, v1
	;; [unrolled: 1-line block ×3, first 2 shown]
	v_pk_mul_f32 v[12:13], v[20:21], v[6:7]
	v_pk_add_f32 v[24:25], v[24:25], v[44:45] op_sel:[0,1] op_sel_hi:[1,0]
	v_pk_fma_f32 v[20:21], v[70:71], v[6:7], v[12:13] op_sel:[0,0,1] op_sel_hi:[1,1,0]
	v_pk_fma_f32 v[6:7], v[70:71], v[6:7], v[12:13] op_sel:[0,0,1] op_sel_hi:[1,1,0] neg_lo:[0,0,1] neg_hi:[0,0,1]
	v_mov_b32_e32 v44, v36
	v_mov_b32_e32 v21, v7
	v_pk_mul_f32 v[6:7], v[22:23], v[10:11]
	v_mov_b32_e32 v45, v25
	v_pk_fma_f32 v[12:13], v[68:69], v[10:11], v[6:7] op_sel:[0,0,1] op_sel_hi:[1,1,0]
	v_pk_fma_f32 v[6:7], v[68:69], v[10:11], v[6:7] op_sel:[0,0,1] op_sel_hi:[1,1,0] neg_lo:[0,0,1] neg_hi:[0,0,1]
	v_pk_fma_f32 v[44:45], v[46:47], s[4:5], v[44:45] op_sel_hi:[1,0,1]
	v_mov_b32_e32 v13, v7
	v_pk_mul_f32 v[6:7], v[16:17], v[14:15]
	v_pk_fma_f32 v[0:1], v[8:9], s[4:5], v[0:1] op_sel_hi:[1,0,1]
	v_pk_fma_f32 v[10:11], v[66:67], v[14:15], v[6:7] op_sel:[0,0,1] op_sel_hi:[1,1,0]
	v_pk_fma_f32 v[6:7], v[66:67], v[14:15], v[6:7] op_sel:[0,0,1] op_sel_hi:[1,1,0] neg_lo:[0,0,1] neg_hi:[0,0,1]
	v_mov_b32_e32 v25, v37
	v_mov_b32_e32 v11, v7
	v_pk_mul_f32 v[6:7], v[18:19], v[26:27]
	v_pk_fma_f32 v[28:29], v[8:9], s[4:5], v[28:29] op_sel_hi:[1,0,1]
	v_pk_fma_f32 v[14:15], v[64:65], v[26:27], v[6:7] op_sel:[0,0,1] op_sel_hi:[1,1,0]
	v_pk_fma_f32 v[6:7], v[64:65], v[26:27], v[6:7] op_sel:[0,0,1] op_sel_hi:[1,1,0] neg_lo:[0,0,1] neg_hi:[0,0,1]
	v_pk_fma_f32 v[8:9], v[46:47], s[4:5], v[24:25] op_sel_hi:[1,0,1]
	v_mov_b32_e32 v15, v7
	v_pk_add_f32 v[6:7], v[12:13], v[10:11]
	v_pk_add_f32 v[16:17], v[20:21], v[14:15] neg_lo:[0,1] neg_hi:[0,1]
	v_pk_fma_f32 v[6:7], v[6:7], 0.5, v[2:3] op_sel_hi:[1,0,1] neg_lo:[1,0,0] neg_hi:[1,0,0]
	v_pk_add_f32 v[22:23], v[20:21], v[12:13] neg_lo:[0,1] neg_hi:[0,1]
	v_pk_add_f32 v[24:25], v[14:15], v[10:11] neg_lo:[0,1] neg_hi:[0,1]
	s_barrier
	ds_write2_b64 v59, v[4:5], v[44:45] offset1:154
	ds_write2_b64 v50, v[28:29], v[0:1] offset0:52 offset1:206
	v_pk_add_f32 v[0:1], v[2:3], v[20:21]
	v_pk_add_f32 v[18:19], v[12:13], v[10:11] neg_lo:[0,1] neg_hi:[0,1]
	v_pk_add_f32 v[22:23], v[22:23], v[24:25]
	v_pk_fma_f32 v[24:25], v[16:17], s[0:1], v[6:7] op_sel:[1,0,0] op_sel_hi:[0,0,1]
	v_pk_fma_f32 v[6:7], v[16:17], s[0:1], v[6:7] op_sel:[1,0,0] op_sel_hi:[0,0,1] neg_lo:[1,0,0] neg_hi:[1,0,0]
	v_pk_add_f32 v[0:1], v[0:1], v[12:13]
	v_pk_fma_f32 v[6:7], v[18:19], s[2:3], v[6:7] op_sel:[1,0,0] op_sel_hi:[0,0,1] neg_lo:[1,0,0] neg_hi:[1,0,0]
	v_pk_fma_f32 v[24:25], v[18:19], s[2:3], v[24:25] op_sel:[1,0,0] op_sel_hi:[0,0,1]
	v_pk_add_f32 v[0:1], v[0:1], v[10:11]
	v_mov_b32_e32 v27, v7
	v_pk_add_f32 v[0:1], v[0:1], v[14:15]
	v_mov_b32_e32 v7, v25
	v_pk_add_f32 v[4:5], v[20:21], v[14:15]
	ds_write2_b64 v51, v[8:9], v[0:1] offset0:40 offset1:194
	v_pk_fma_f32 v[0:1], v[22:23], s[4:5], v[6:7] op_sel_hi:[1,0,1]
	v_pk_fma_f32 v[2:3], v[4:5], 0.5, v[2:3] op_sel_hi:[1,0,1] neg_lo:[1,0,0] neg_hi:[1,0,0]
	v_pk_add_f32 v[4:5], v[12:13], v[20:21] neg_lo:[0,1] neg_hi:[0,1]
	v_pk_add_f32 v[6:7], v[10:11], v[14:15] neg_lo:[0,1] neg_hi:[0,1]
	v_mov_b32_e32 v26, v24
	v_pk_add_f32 v[4:5], v[4:5], v[6:7]
	v_pk_fma_f32 v[6:7], v[18:19], s[0:1], v[2:3] op_sel:[1,0,0] op_sel_hi:[0,0,1] neg_lo:[1,0,0] neg_hi:[1,0,0]
	v_pk_fma_f32 v[2:3], v[18:19], s[0:1], v[2:3] op_sel:[1,0,0] op_sel_hi:[0,0,1]
	v_pk_fma_f32 v[2:3], v[16:17], s[2:3], v[2:3] op_sel:[1,0,0] op_sel_hi:[0,0,1] neg_lo:[1,0,0] neg_hi:[1,0,0]
	v_pk_fma_f32 v[6:7], v[16:17], s[2:3], v[6:7] op_sel:[1,0,0] op_sel_hi:[0,0,1]
	v_mov_b32_e32 v9, v3
	v_mov_b32_e32 v3, v7
	;; [unrolled: 1-line block ×3, first 2 shown]
	v_pk_fma_f32 v[2:3], v[4:5], s[4:5], v[2:3] op_sel_hi:[1,0,1]
	v_pk_fma_f32 v[26:27], v[22:23], s[4:5], v[26:27] op_sel_hi:[1,0,1]
	;; [unrolled: 1-line block ×3, first 2 shown]
	ds_write2_b64 v52, v[0:1], v[2:3] offset0:28 offset1:182
	ds_write2_b64 v53, v[8:9], v[26:27] offset0:80 offset1:234
	s_waitcnt lgkmcnt(0)
	s_barrier
	ds_read2_b64 v[0:3], v51 offset0:40 offset1:194
	ds_read2_b64 v[4:7], v59 offset1:154
	ds_read2_b64 v[8:11], v52 offset0:28 offset1:182
	s_waitcnt lgkmcnt(2)
	v_pk_mul_f32 v[12:13], v[82:83], v[2:3]
	s_nop 0
	v_pk_fma_f32 v[14:15], v[62:63], v[2:3], v[12:13] op_sel:[0,0,1] op_sel_hi:[1,1,0]
	v_pk_fma_f32 v[2:3], v[62:63], v[2:3], v[12:13] op_sel:[0,0,1] op_sel_hi:[1,1,0] neg_lo:[0,0,1] neg_hi:[0,0,1]
	s_waitcnt lgkmcnt(0)
	v_pk_mul_f32 v[20:21], v[78:79], v[10:11]
	v_mov_b32_e32 v15, v3
	v_pk_add_f32 v[12:13], v[4:5], v[14:15] neg_lo:[0,1] neg_hi:[0,1]
	v_pk_mul_f32 v[2:3], v[76:77], v[8:9] op_sel:[1,0]
	v_pk_fma_f32 v[14:15], v[4:5], 2.0, v[12:13] op_sel_hi:[1,0,1] neg_lo:[0,0,1] neg_hi:[0,0,1]
	v_pk_fma_f32 v[4:5], v[76:77], v[8:9], v[2:3] op_sel:[0,0,1] op_sel_hi:[1,1,0]
	v_pk_fma_f32 v[2:3], v[76:77], v[8:9], v[2:3] op_sel:[0,0,1] op_sel_hi:[0,1,0] neg_lo:[0,0,1] neg_hi:[0,0,1]
	v_mov_b32_e32 v5, v3
	v_pk_add_f32 v[16:17], v[6:7], v[4:5] neg_lo:[0,1] neg_hi:[0,1]
	ds_read2_b64 v[2:5], v50 offset0:52 offset1:206
	v_pk_fma_f32 v[18:19], v[6:7], 2.0, v[16:17] op_sel_hi:[1,0,1] neg_lo:[0,0,1] neg_hi:[0,0,1]
	ds_read2_b64 v[6:9], v53 offset0:80 offset1:234
	v_pk_fma_f32 v[22:23], v[42:43], v[10:11], v[20:21] op_sel:[0,0,1] op_sel_hi:[1,1,0]
	v_pk_fma_f32 v[10:11], v[42:43], v[10:11], v[20:21] op_sel:[0,0,1] op_sel_hi:[1,1,0] neg_lo:[0,0,1] neg_hi:[0,0,1]
	ds_write2_b64 v59, v[14:15], v[18:19] offset1:154
	v_mov_b32_e32 v23, v11
	s_waitcnt lgkmcnt(1)
	v_pk_mul_f32 v[20:21], v[74:75], v[6:7]
	v_pk_mul_f32 v[14:15], v[72:73], v[8:9]
	v_pk_add_f32 v[10:11], v[2:3], v[22:23] neg_lo:[0,1] neg_hi:[0,1]
	v_pk_fma_f32 v[22:23], v[38:39], v[6:7], v[20:21] op_sel:[0,0,1] op_sel_hi:[1,1,0]
	v_pk_fma_f32 v[6:7], v[38:39], v[6:7], v[20:21] op_sel:[0,0,1] op_sel_hi:[1,1,0] neg_lo:[0,0,1] neg_hi:[0,0,1]
	v_pk_fma_f32 v[18:19], v[32:33], v[8:9], v[14:15] op_sel:[0,0,1] op_sel_hi:[1,1,0]
	v_pk_fma_f32 v[8:9], v[32:33], v[8:9], v[14:15] op_sel:[0,0,1] op_sel_hi:[1,1,0] neg_lo:[0,0,1] neg_hi:[0,0,1]
	v_mov_b32_e32 v23, v7
	v_mov_b32_e32 v19, v9
	v_pk_add_f32 v[6:7], v[4:5], v[22:23] neg_lo:[0,1] neg_hi:[0,1]
	v_pk_add_f32 v[8:9], v[0:1], v[18:19] neg_lo:[0,1] neg_hi:[0,1]
	v_pk_fma_f32 v[2:3], v[2:3], 2.0, v[10:11] op_sel_hi:[1,0,1] neg_lo:[0,0,1] neg_hi:[0,0,1]
	v_pk_fma_f32 v[4:5], v[4:5], 2.0, v[6:7] op_sel_hi:[1,0,1] neg_lo:[0,0,1] neg_hi:[0,0,1]
	;; [unrolled: 1-line block ×3, first 2 shown]
	ds_write2_b64 v52, v[16:17], v[10:11] offset0:28 offset1:182
	ds_write2_b64 v50, v[2:3], v[4:5] offset0:52 offset1:206
	ds_write2_b64 v51, v[0:1], v[12:13] offset0:40 offset1:194
	ds_write2_b64 v53, v[6:7], v[8:9] offset0:80 offset1:234
	s_waitcnt lgkmcnt(0)
	s_barrier
	s_and_b64 exec, exec, s[6:7]
	s_cbranch_execz .LBB0_25
; %bb.24:
	global_load_dwordx2 v[0:1], v56, s[12:13]
	global_load_dwordx2 v[10:11], v56, s[12:13] offset:1120
	global_load_dwordx2 v[12:13], v56, s[12:13] offset:2240
	;; [unrolled: 1-line block ×3, first 2 shown]
	v_mov_b32_e32 v57, 0
	v_mad_u64_u32 v[22:23], s[2:3], s8, v58, 0
	s_movk_i32 s2, 0x1000
	v_lshl_add_u64 v[24:25], s[12:13], 0, v[56:57]
	v_add_co_u32_e32 v26, vcc, s2, v24
	v_add_u32_e32 v2, 0x400, v56
	s_nop 0
	v_addc_co_u32_e32 v27, vcc, 0, v25, vcc
	global_load_dwordx2 v[28:29], v[26:27], off offset:384
	v_add_u32_e32 v6, 0xc00, v56
	ds_read_b64 v[20:21], v59
	ds_read2_b64 v[2:5], v2 offset0:12 offset1:152
	ds_read2_b64 v[6:9], v6 offset0:36 offset1:176
	global_load_dwordx2 v[34:35], v[26:27], off offset:1504
	v_mad_u64_u32 v[16:17], s[0:1], s10, v60, 0
	s_movk_i32 s3, 0x2000
	v_mov_b32_e32 v30, v17
	v_mov_b32_e32 v32, v23
	v_mad_u64_u32 v[30:31], s[4:5], s11, v60, v[30:31]
	v_mad_u64_u32 v[32:33], s[4:5], s9, v58, v[32:33]
	v_add_co_u32_e32 v24, vcc, s3, v24
	v_mov_b32_e32 v17, v30
	s_nop 0
	v_addc_co_u32_e32 v25, vcc, 0, v25, vcc
	v_mov_b32_e32 v23, v32
	global_load_dwordx2 v[30:31], v[26:27], off offset:2624
	global_load_dwordx2 v[32:33], v[26:27], off offset:3744
	;; [unrolled: 1-line block ×5, first 2 shown]
	v_mov_b32_e32 v14, s16
	v_mov_b32_e32 v15, s17
	v_lshl_add_u64 v[14:15], v[16:17], 3, v[14:15]
	s_mov_b32 s0, 0xe6bb82fe
	v_mov_b32_e32 v42, 0x460
	v_lshl_add_u64 v[14:15], v[22:23], 3, v[14:15]
	s_mov_b32 s1, 0x3f454725
	s_mul_i32 s2, s9, 0x460
	v_mad_u64_u32 v[16:17], s[4:5], s8, v42, v[14:15]
	v_add_u32_e32 v17, s2, v17
	v_mad_u64_u32 v[22:23], s[4:5], s8, v42, v[16:17]
	v_add_u32_e32 v23, s2, v23
	s_waitcnt vmcnt(10) lgkmcnt(2)
	v_mul_f32_e32 v24, v21, v1
	v_mul_f32_e32 v1, v20, v1
	s_waitcnt vmcnt(9) lgkmcnt(1)
	v_mul_f32_e32 v25, v3, v11
	v_mul_f32_e32 v11, v2, v11
	s_waitcnt vmcnt(8)
	v_mul_f32_e32 v26, v5, v13
	v_mul_f32_e32 v13, v4, v13
	v_fmac_f32_e32 v24, v20, v0
	v_fma_f32 v20, v0, v21, -v1
	v_fmac_f32_e32 v25, v2, v10
	v_fma_f32 v10, v10, v3, -v11
	v_fmac_f32_e32 v26, v4, v12
	v_fma_f32 v21, v12, v5, -v13
	v_cvt_f64_f32_e32 v[0:1], v24
	v_cvt_f64_f32_e32 v[2:3], v20
	;; [unrolled: 1-line block ×6, first 2 shown]
	v_mul_f64 v[0:1], v[0:1], s[0:1]
	v_mul_f64 v[2:3], v[2:3], s[0:1]
	;; [unrolled: 1-line block ×6, first 2 shown]
	v_cvt_f32_f64_e32 v0, v[0:1]
	v_cvt_f32_f64_e32 v1, v[2:3]
	;; [unrolled: 1-line block ×6, first 2 shown]
	global_store_dwordx2 v[14:15], v[0:1], off
	global_store_dwordx2 v[16:17], v[2:3], off
	;; [unrolled: 1-line block ×3, first 2 shown]
	s_waitcnt vmcnt(10) lgkmcnt(0)
	v_mul_f32_e32 v0, v7, v19
	v_fmac_f32_e32 v0, v6, v18
	v_cvt_f64_f32_e32 v[0:1], v0
	v_mul_f64 v[0:1], v[0:1], s[0:1]
	v_cvt_f32_f64_e32 v0, v[0:1]
	v_mul_f32_e32 v1, v6, v19
	v_fma_f32 v1, v18, v7, -v1
	v_cvt_f64_f32_e32 v[2:3], v1
	v_mul_f64 v[2:3], v[2:3], s[0:1]
	v_mad_u64_u32 v[4:5], s[4:5], s8, v42, v[22:23]
	v_cvt_f32_f64_e32 v1, v[2:3]
	v_add_u32_e32 v5, s2, v5
	global_store_dwordx2 v[4:5], v[0:1], off
	s_waitcnt vmcnt(10)
	v_mul_f32_e32 v0, v9, v29
	v_fmac_f32_e32 v0, v8, v28
	v_cvt_f64_f32_e32 v[0:1], v0
	v_mul_f64 v[0:1], v[0:1], s[0:1]
	v_cvt_f32_f64_e32 v6, v[0:1]
	v_mul_f32_e32 v0, v8, v29
	v_fma_f32 v0, v28, v9, -v0
	v_cvt_f64_f32_e32 v[0:1], v0
	v_mul_f64 v[0:1], v[0:1], s[0:1]
	v_cvt_f32_f64_e32 v7, v[0:1]
	v_add_u32_e32 v0, 0x1400, v56
	ds_read2_b64 v[0:3], v0 offset0:60 offset1:200
	v_mad_u64_u32 v[4:5], s[4:5], s8, v42, v[4:5]
	v_add_u32_e32 v5, s2, v5
	global_store_dwordx2 v[4:5], v[6:7], off
	s_waitcnt vmcnt(10) lgkmcnt(0)
	v_mul_f32_e32 v6, v1, v35
	v_fmac_f32_e32 v6, v0, v34
	v_mul_f32_e32 v0, v0, v35
	v_fma_f32 v0, v34, v1, -v0
	v_cvt_f64_f32_e32 v[6:7], v6
	v_cvt_f64_f32_e32 v[0:1], v0
	v_mul_f64 v[6:7], v[6:7], s[0:1]
	v_mul_f64 v[0:1], v[0:1], s[0:1]
	v_cvt_f32_f64_e32 v6, v[6:7]
	v_cvt_f32_f64_e32 v7, v[0:1]
	s_waitcnt vmcnt(9)
	v_mul_f32_e32 v0, v3, v31
	v_fmac_f32_e32 v0, v2, v30
	v_mad_u64_u32 v[4:5], s[4:5], s8, v42, v[4:5]
	v_cvt_f64_f32_e32 v[0:1], v0
	v_add_u32_e32 v5, s2, v5
	v_mul_f64 v[0:1], v[0:1], s[0:1]
	global_store_dwordx2 v[4:5], v[6:7], off
	v_cvt_f32_f64_e32 v6, v[0:1]
	v_mul_f32_e32 v0, v2, v31
	v_fma_f32 v0, v30, v3, -v0
	v_cvt_f64_f32_e32 v[0:1], v0
	v_mul_f64 v[0:1], v[0:1], s[0:1]
	v_cvt_f32_f64_e32 v7, v[0:1]
	v_add_u32_e32 v0, 0x1c00, v56
	ds_read2_b64 v[0:3], v0 offset0:84 offset1:224
	v_mad_u64_u32 v[4:5], s[4:5], s8, v42, v[4:5]
	v_add_u32_e32 v5, s2, v5
	global_store_dwordx2 v[4:5], v[6:7], off
	s_waitcnt vmcnt(10) lgkmcnt(0)
	v_mul_f32_e32 v6, v1, v33
	v_fmac_f32_e32 v6, v0, v32
	v_mul_f32_e32 v0, v0, v33
	v_fma_f32 v0, v32, v1, -v0
	v_cvt_f64_f32_e32 v[6:7], v6
	v_cvt_f64_f32_e32 v[0:1], v0
	v_mul_f64 v[6:7], v[6:7], s[0:1]
	v_mul_f64 v[0:1], v[0:1], s[0:1]
	v_cvt_f32_f64_e32 v6, v[6:7]
	v_cvt_f32_f64_e32 v7, v[0:1]
	s_waitcnt vmcnt(9)
	v_mul_f32_e32 v0, v3, v37
	v_fmac_f32_e32 v0, v2, v36
	v_mad_u64_u32 v[4:5], s[4:5], s8, v42, v[4:5]
	v_cvt_f64_f32_e32 v[0:1], v0
	v_add_u32_e32 v5, s2, v5
	v_mul_f64 v[0:1], v[0:1], s[0:1]
	global_store_dwordx2 v[4:5], v[6:7], off
	v_cvt_f32_f64_e32 v6, v[0:1]
	v_mul_f32_e32 v0, v2, v37
	v_fma_f32 v0, v36, v3, -v0
	v_cvt_f64_f32_e32 v[0:1], v0
	v_mul_f64 v[0:1], v[0:1], s[0:1]
	v_cvt_f32_f64_e32 v7, v[0:1]
	v_add_u32_e32 v0, 0x2400, v56
	ds_read2_b64 v[0:3], v0 offset0:108 offset1:248
	v_mad_u64_u32 v[4:5], s[4:5], s8, v42, v[4:5]
	v_add_u32_e32 v5, s2, v5
	global_store_dwordx2 v[4:5], v[6:7], off
	s_waitcnt vmcnt(10) lgkmcnt(0)
	v_mul_f32_e32 v6, v1, v39
	v_fmac_f32_e32 v6, v0, v38
	v_mul_f32_e32 v0, v0, v39
	v_fma_f32 v0, v38, v1, -v0
	v_cvt_f64_f32_e32 v[6:7], v6
	v_cvt_f64_f32_e32 v[0:1], v0
	v_mul_f64 v[6:7], v[6:7], s[0:1]
	v_mul_f64 v[0:1], v[0:1], s[0:1]
	v_cvt_f32_f64_e32 v6, v[6:7]
	v_cvt_f32_f64_e32 v7, v[0:1]
	v_mad_u64_u32 v[0:1], s[4:5], s8, v42, v[4:5]
	s_waitcnt vmcnt(9)
	v_mul_f32_e32 v4, v3, v41
	v_fmac_f32_e32 v4, v2, v40
	v_mul_f32_e32 v2, v2, v41
	v_fma_f32 v2, v40, v3, -v2
	v_add_u32_e32 v1, s2, v1
	v_cvt_f64_f32_e32 v[4:5], v4
	v_cvt_f64_f32_e32 v[2:3], v2
	global_store_dwordx2 v[0:1], v[6:7], off
	v_mul_f64 v[4:5], v[4:5], s[0:1]
	v_mul_f64 v[2:3], v[2:3], s[0:1]
	v_mad_u64_u32 v[0:1], s[0:1], s8, v42, v[0:1]
	v_cvt_f32_f64_e32 v4, v[4:5]
	v_cvt_f32_f64_e32 v5, v[2:3]
	v_add_u32_e32 v1, s2, v1
	global_store_dwordx2 v[0:1], v[4:5], off
.LBB0_25:
	s_endpgm
	.section	.rodata,"a",@progbits
	.p2align	6, 0x0
	.amdhsa_kernel bluestein_single_back_len1540_dim1_sp_op_CI_CI
		.amdhsa_group_segment_fixed_size 12320
		.amdhsa_private_segment_fixed_size 0
		.amdhsa_kernarg_size 104
		.amdhsa_user_sgpr_count 2
		.amdhsa_user_sgpr_dispatch_ptr 0
		.amdhsa_user_sgpr_queue_ptr 0
		.amdhsa_user_sgpr_kernarg_segment_ptr 1
		.amdhsa_user_sgpr_dispatch_id 0
		.amdhsa_user_sgpr_kernarg_preload_length 0
		.amdhsa_user_sgpr_kernarg_preload_offset 0
		.amdhsa_user_sgpr_private_segment_size 0
		.amdhsa_uses_dynamic_stack 0
		.amdhsa_enable_private_segment 0
		.amdhsa_system_sgpr_workgroup_id_x 1
		.amdhsa_system_sgpr_workgroup_id_y 0
		.amdhsa_system_sgpr_workgroup_id_z 0
		.amdhsa_system_sgpr_workgroup_info 0
		.amdhsa_system_vgpr_workitem_id 0
		.amdhsa_next_free_vgpr 184
		.amdhsa_next_free_sgpr 50
		.amdhsa_accum_offset 184
		.amdhsa_reserve_vcc 1
		.amdhsa_float_round_mode_32 0
		.amdhsa_float_round_mode_16_64 0
		.amdhsa_float_denorm_mode_32 3
		.amdhsa_float_denorm_mode_16_64 3
		.amdhsa_dx10_clamp 1
		.amdhsa_ieee_mode 1
		.amdhsa_fp16_overflow 0
		.amdhsa_tg_split 0
		.amdhsa_exception_fp_ieee_invalid_op 0
		.amdhsa_exception_fp_denorm_src 0
		.amdhsa_exception_fp_ieee_div_zero 0
		.amdhsa_exception_fp_ieee_overflow 0
		.amdhsa_exception_fp_ieee_underflow 0
		.amdhsa_exception_fp_ieee_inexact 0
		.amdhsa_exception_int_div_zero 0
	.end_amdhsa_kernel
	.text
.Lfunc_end0:
	.size	bluestein_single_back_len1540_dim1_sp_op_CI_CI, .Lfunc_end0-bluestein_single_back_len1540_dim1_sp_op_CI_CI
                                        ; -- End function
	.section	.AMDGPU.csdata,"",@progbits
; Kernel info:
; codeLenInByte = 13960
; NumSgprs: 56
; NumVgprs: 184
; NumAgprs: 0
; TotalNumVgprs: 184
; ScratchSize: 0
; MemoryBound: 0
; FloatMode: 240
; IeeeMode: 1
; LDSByteSize: 12320 bytes/workgroup (compile time only)
; SGPRBlocks: 6
; VGPRBlocks: 22
; NumSGPRsForWavesPerEU: 56
; NumVGPRsForWavesPerEU: 184
; AccumOffset: 184
; Occupancy: 2
; WaveLimiterHint : 1
; COMPUTE_PGM_RSRC2:SCRATCH_EN: 0
; COMPUTE_PGM_RSRC2:USER_SGPR: 2
; COMPUTE_PGM_RSRC2:TRAP_HANDLER: 0
; COMPUTE_PGM_RSRC2:TGID_X_EN: 1
; COMPUTE_PGM_RSRC2:TGID_Y_EN: 0
; COMPUTE_PGM_RSRC2:TGID_Z_EN: 0
; COMPUTE_PGM_RSRC2:TIDIG_COMP_CNT: 0
; COMPUTE_PGM_RSRC3_GFX90A:ACCUM_OFFSET: 45
; COMPUTE_PGM_RSRC3_GFX90A:TG_SPLIT: 0
	.text
	.p2alignl 6, 3212836864
	.fill 256, 4, 3212836864
	.type	__hip_cuid_fe96dcdb72ee9b3c,@object ; @__hip_cuid_fe96dcdb72ee9b3c
	.section	.bss,"aw",@nobits
	.globl	__hip_cuid_fe96dcdb72ee9b3c
__hip_cuid_fe96dcdb72ee9b3c:
	.byte	0                               ; 0x0
	.size	__hip_cuid_fe96dcdb72ee9b3c, 1

	.ident	"AMD clang version 19.0.0git (https://github.com/RadeonOpenCompute/llvm-project roc-6.4.0 25133 c7fe45cf4b819c5991fe208aaa96edf142730f1d)"
	.section	".note.GNU-stack","",@progbits
	.addrsig
	.addrsig_sym __hip_cuid_fe96dcdb72ee9b3c
	.amdgpu_metadata
---
amdhsa.kernels:
  - .agpr_count:     0
    .args:
      - .actual_access:  read_only
        .address_space:  global
        .offset:         0
        .size:           8
        .value_kind:     global_buffer
      - .actual_access:  read_only
        .address_space:  global
        .offset:         8
        .size:           8
        .value_kind:     global_buffer
      - .actual_access:  read_only
        .address_space:  global
        .offset:         16
        .size:           8
        .value_kind:     global_buffer
      - .actual_access:  read_only
        .address_space:  global
        .offset:         24
        .size:           8
        .value_kind:     global_buffer
      - .actual_access:  read_only
        .address_space:  global
        .offset:         32
        .size:           8
        .value_kind:     global_buffer
      - .offset:         40
        .size:           8
        .value_kind:     by_value
      - .address_space:  global
        .offset:         48
        .size:           8
        .value_kind:     global_buffer
      - .address_space:  global
        .offset:         56
        .size:           8
        .value_kind:     global_buffer
      - .address_space:  global
        .offset:         64
        .size:           8
        .value_kind:     global_buffer
      - .address_space:  global
        .offset:         72
        .size:           8
        .value_kind:     global_buffer
      - .offset:         80
        .size:           4
        .value_kind:     by_value
      - .address_space:  global
        .offset:         88
        .size:           8
        .value_kind:     global_buffer
      - .address_space:  global
        .offset:         96
        .size:           8
        .value_kind:     global_buffer
    .group_segment_fixed_size: 12320
    .kernarg_segment_align: 8
    .kernarg_segment_size: 104
    .language:       OpenCL C
    .language_version:
      - 2
      - 0
    .max_flat_workgroup_size: 154
    .name:           bluestein_single_back_len1540_dim1_sp_op_CI_CI
    .private_segment_fixed_size: 0
    .sgpr_count:     56
    .sgpr_spill_count: 0
    .symbol:         bluestein_single_back_len1540_dim1_sp_op_CI_CI.kd
    .uniform_work_group_size: 1
    .uses_dynamic_stack: false
    .vgpr_count:     184
    .vgpr_spill_count: 0
    .wavefront_size: 64
amdhsa.target:   amdgcn-amd-amdhsa--gfx950
amdhsa.version:
  - 1
  - 2
...

	.end_amdgpu_metadata
